;; amdgpu-corpus repo=ROCm/rocFFT kind=compiled arch=gfx1030 opt=O3
	.text
	.amdgcn_target "amdgcn-amd-amdhsa--gfx1030"
	.amdhsa_code_object_version 6
	.protected	fft_rtc_fwd_len1326_factors_17_6_13_wgs_204_tpt_102_halfLds_sp_ip_CI_unitstride_sbrr_C2R_dirReg ; -- Begin function fft_rtc_fwd_len1326_factors_17_6_13_wgs_204_tpt_102_halfLds_sp_ip_CI_unitstride_sbrr_C2R_dirReg
	.globl	fft_rtc_fwd_len1326_factors_17_6_13_wgs_204_tpt_102_halfLds_sp_ip_CI_unitstride_sbrr_C2R_dirReg
	.p2align	8
	.type	fft_rtc_fwd_len1326_factors_17_6_13_wgs_204_tpt_102_halfLds_sp_ip_CI_unitstride_sbrr_C2R_dirReg,@function
fft_rtc_fwd_len1326_factors_17_6_13_wgs_204_tpt_102_halfLds_sp_ip_CI_unitstride_sbrr_C2R_dirReg: ; @fft_rtc_fwd_len1326_factors_17_6_13_wgs_204_tpt_102_halfLds_sp_ip_CI_unitstride_sbrr_C2R_dirReg
; %bb.0:
	s_clause 0x2
	s_load_dwordx4 s[8:11], s[4:5], 0x0
	s_load_dwordx2 s[2:3], s[4:5], 0x50
	s_load_dwordx2 s[12:13], s[4:5], 0x18
	v_mul_u32_u24_e32 v1, 0x283, v0
	v_mov_b32_e32 v3, 0
	v_lshrrev_b32_e32 v9, 16, v1
	v_mov_b32_e32 v1, 0
	v_mov_b32_e32 v6, v3
	v_mov_b32_e32 v2, 0
	v_lshl_add_u32 v5, s6, 1, v9
	s_waitcnt lgkmcnt(0)
	v_cmp_lt_u64_e64 s0, s[10:11], 2
	s_and_b32 vcc_lo, exec_lo, s0
	s_cbranch_vccnz .LBB0_8
; %bb.1:
	s_load_dwordx2 s[0:1], s[4:5], 0x10
	v_mov_b32_e32 v1, 0
	s_add_u32 s6, s12, 8
	v_mov_b32_e32 v2, 0
	s_addc_u32 s7, s13, 0
	s_mov_b64 s[16:17], 1
	s_waitcnt lgkmcnt(0)
	s_add_u32 s14, s0, 8
	s_addc_u32 s15, s1, 0
.LBB0_2:                                ; =>This Inner Loop Header: Depth=1
	s_load_dwordx2 s[18:19], s[14:15], 0x0
                                        ; implicit-def: $vgpr7_vgpr8
	s_mov_b32 s0, exec_lo
	s_waitcnt lgkmcnt(0)
	v_or_b32_e32 v4, s19, v6
	v_cmpx_ne_u64_e32 0, v[3:4]
	s_xor_b32 s1, exec_lo, s0
	s_cbranch_execz .LBB0_4
; %bb.3:                                ;   in Loop: Header=BB0_2 Depth=1
	v_cvt_f32_u32_e32 v4, s18
	v_cvt_f32_u32_e32 v7, s19
	s_sub_u32 s0, 0, s18
	s_subb_u32 s20, 0, s19
	v_fmac_f32_e32 v4, 0x4f800000, v7
	v_rcp_f32_e32 v4, v4
	v_mul_f32_e32 v4, 0x5f7ffffc, v4
	v_mul_f32_e32 v7, 0x2f800000, v4
	v_trunc_f32_e32 v7, v7
	v_fmac_f32_e32 v4, 0xcf800000, v7
	v_cvt_u32_f32_e32 v7, v7
	v_cvt_u32_f32_e32 v4, v4
	v_mul_lo_u32 v8, s0, v7
	v_mul_hi_u32 v10, s0, v4
	v_mul_lo_u32 v11, s20, v4
	v_add_nc_u32_e32 v8, v10, v8
	v_mul_lo_u32 v10, s0, v4
	v_add_nc_u32_e32 v8, v8, v11
	v_mul_hi_u32 v11, v4, v10
	v_mul_lo_u32 v12, v4, v8
	v_mul_hi_u32 v13, v4, v8
	v_mul_hi_u32 v14, v7, v10
	v_mul_lo_u32 v10, v7, v10
	v_mul_hi_u32 v15, v7, v8
	v_mul_lo_u32 v8, v7, v8
	v_add_co_u32 v11, vcc_lo, v11, v12
	v_add_co_ci_u32_e32 v12, vcc_lo, 0, v13, vcc_lo
	v_add_co_u32 v10, vcc_lo, v11, v10
	v_add_co_ci_u32_e32 v10, vcc_lo, v12, v14, vcc_lo
	v_add_co_ci_u32_e32 v11, vcc_lo, 0, v15, vcc_lo
	v_add_co_u32 v8, vcc_lo, v10, v8
	v_add_co_ci_u32_e32 v10, vcc_lo, 0, v11, vcc_lo
	v_add_co_u32 v4, vcc_lo, v4, v8
	v_add_co_ci_u32_e32 v7, vcc_lo, v7, v10, vcc_lo
	v_mul_hi_u32 v8, s0, v4
	v_mul_lo_u32 v11, s20, v4
	v_mul_lo_u32 v10, s0, v7
	v_add_nc_u32_e32 v8, v8, v10
	v_mul_lo_u32 v10, s0, v4
	v_add_nc_u32_e32 v8, v8, v11
	v_mul_hi_u32 v11, v4, v10
	v_mul_lo_u32 v12, v4, v8
	v_mul_hi_u32 v13, v4, v8
	v_mul_hi_u32 v14, v7, v10
	v_mul_lo_u32 v10, v7, v10
	v_mul_hi_u32 v15, v7, v8
	v_mul_lo_u32 v8, v7, v8
	v_add_co_u32 v11, vcc_lo, v11, v12
	v_add_co_ci_u32_e32 v12, vcc_lo, 0, v13, vcc_lo
	v_add_co_u32 v10, vcc_lo, v11, v10
	v_add_co_ci_u32_e32 v10, vcc_lo, v12, v14, vcc_lo
	v_add_co_ci_u32_e32 v11, vcc_lo, 0, v15, vcc_lo
	v_add_co_u32 v8, vcc_lo, v10, v8
	v_add_co_ci_u32_e32 v10, vcc_lo, 0, v11, vcc_lo
	v_add_co_u32 v4, vcc_lo, v4, v8
	v_add_co_ci_u32_e32 v12, vcc_lo, v7, v10, vcc_lo
	v_mul_hi_u32 v14, v5, v4
	v_mad_u64_u32 v[10:11], null, v6, v4, 0
	v_mad_u64_u32 v[7:8], null, v5, v12, 0
	;; [unrolled: 1-line block ×3, first 2 shown]
	v_add_co_u32 v4, vcc_lo, v14, v7
	v_add_co_ci_u32_e32 v7, vcc_lo, 0, v8, vcc_lo
	v_add_co_u32 v4, vcc_lo, v4, v10
	v_add_co_ci_u32_e32 v4, vcc_lo, v7, v11, vcc_lo
	v_add_co_ci_u32_e32 v7, vcc_lo, 0, v13, vcc_lo
	v_add_co_u32 v4, vcc_lo, v4, v12
	v_add_co_ci_u32_e32 v10, vcc_lo, 0, v7, vcc_lo
	v_mul_lo_u32 v11, s19, v4
	v_mad_u64_u32 v[7:8], null, s18, v4, 0
	v_mul_lo_u32 v12, s18, v10
	v_sub_co_u32 v7, vcc_lo, v5, v7
	v_add3_u32 v8, v8, v12, v11
	v_sub_nc_u32_e32 v11, v6, v8
	v_subrev_co_ci_u32_e64 v11, s0, s19, v11, vcc_lo
	v_add_co_u32 v12, s0, v4, 2
	v_add_co_ci_u32_e64 v13, s0, 0, v10, s0
	v_sub_co_u32 v14, s0, v7, s18
	v_sub_co_ci_u32_e32 v8, vcc_lo, v6, v8, vcc_lo
	v_subrev_co_ci_u32_e64 v11, s0, 0, v11, s0
	v_cmp_le_u32_e32 vcc_lo, s18, v14
	v_cmp_eq_u32_e64 s0, s19, v8
	v_cndmask_b32_e64 v14, 0, -1, vcc_lo
	v_cmp_le_u32_e32 vcc_lo, s19, v11
	v_cndmask_b32_e64 v15, 0, -1, vcc_lo
	v_cmp_le_u32_e32 vcc_lo, s18, v7
	;; [unrolled: 2-line block ×3, first 2 shown]
	v_cndmask_b32_e64 v16, 0, -1, vcc_lo
	v_cmp_eq_u32_e32 vcc_lo, s19, v11
	v_cndmask_b32_e64 v7, v16, v7, s0
	v_cndmask_b32_e32 v11, v15, v14, vcc_lo
	v_add_co_u32 v14, vcc_lo, v4, 1
	v_add_co_ci_u32_e32 v15, vcc_lo, 0, v10, vcc_lo
	v_cmp_ne_u32_e32 vcc_lo, 0, v11
	v_cndmask_b32_e32 v8, v15, v13, vcc_lo
	v_cndmask_b32_e32 v11, v14, v12, vcc_lo
	v_cmp_ne_u32_e32 vcc_lo, 0, v7
	v_cndmask_b32_e32 v8, v10, v8, vcc_lo
	v_cndmask_b32_e32 v7, v4, v11, vcc_lo
.LBB0_4:                                ;   in Loop: Header=BB0_2 Depth=1
	s_andn2_saveexec_b32 s0, s1
	s_cbranch_execz .LBB0_6
; %bb.5:                                ;   in Loop: Header=BB0_2 Depth=1
	v_cvt_f32_u32_e32 v4, s18
	s_sub_i32 s1, 0, s18
	v_rcp_iflag_f32_e32 v4, v4
	v_mul_f32_e32 v4, 0x4f7ffffe, v4
	v_cvt_u32_f32_e32 v4, v4
	v_mul_lo_u32 v7, s1, v4
	v_mul_hi_u32 v7, v4, v7
	v_add_nc_u32_e32 v4, v4, v7
	v_mul_hi_u32 v4, v5, v4
	v_mul_lo_u32 v7, v4, s18
	v_add_nc_u32_e32 v8, 1, v4
	v_sub_nc_u32_e32 v7, v5, v7
	v_subrev_nc_u32_e32 v10, s18, v7
	v_cmp_le_u32_e32 vcc_lo, s18, v7
	v_cndmask_b32_e32 v7, v7, v10, vcc_lo
	v_cndmask_b32_e32 v4, v4, v8, vcc_lo
	v_cmp_le_u32_e32 vcc_lo, s18, v7
	v_add_nc_u32_e32 v8, 1, v4
	v_cndmask_b32_e32 v7, v4, v8, vcc_lo
	v_mov_b32_e32 v8, v3
.LBB0_6:                                ;   in Loop: Header=BB0_2 Depth=1
	s_or_b32 exec_lo, exec_lo, s0
	s_load_dwordx2 s[0:1], s[6:7], 0x0
	v_mul_lo_u32 v4, v8, s18
	v_mul_lo_u32 v12, v7, s19
	v_mad_u64_u32 v[10:11], null, v7, s18, 0
	s_add_u32 s16, s16, 1
	s_addc_u32 s17, s17, 0
	s_add_u32 s6, s6, 8
	s_addc_u32 s7, s7, 0
	;; [unrolled: 2-line block ×3, first 2 shown]
	v_add3_u32 v4, v11, v12, v4
	v_sub_co_u32 v5, vcc_lo, v5, v10
	v_sub_co_ci_u32_e32 v4, vcc_lo, v6, v4, vcc_lo
	s_waitcnt lgkmcnt(0)
	v_mul_lo_u32 v6, s1, v5
	v_mul_lo_u32 v4, s0, v4
	v_mad_u64_u32 v[1:2], null, s0, v5, v[1:2]
	v_cmp_ge_u64_e64 s0, s[16:17], s[10:11]
	s_and_b32 vcc_lo, exec_lo, s0
	v_add3_u32 v2, v6, v2, v4
	s_cbranch_vccnz .LBB0_9
; %bb.7:                                ;   in Loop: Header=BB0_2 Depth=1
	v_mov_b32_e32 v5, v7
	v_mov_b32_e32 v6, v8
	s_branch .LBB0_2
.LBB0_8:
	v_mov_b32_e32 v8, v6
	v_mov_b32_e32 v7, v5
.LBB0_9:
	s_lshl_b64 s[0:1], s[10:11], 3
	v_mul_hi_u32 v4, 0x2828283, v0
	s_add_u32 s0, s12, s0
	s_addc_u32 s1, s13, s1
	s_load_dwordx2 s[0:1], s[0:1], 0x0
	s_load_dwordx2 s[4:5], s[4:5], 0x20
	v_mul_u32_u24_e32 v4, 0x66, v4
	v_sub_nc_u32_e32 v44, v0, v4
	s_waitcnt lgkmcnt(0)
	v_mad_u64_u32 v[2:3], null, s0, v7, v[1:2]
	v_and_b32_e32 v1, 1, v9
	v_mul_lo_u32 v5, s0, v8
	v_mul_lo_u32 v6, s1, v7
	v_cmp_eq_u32_e32 vcc_lo, 1, v1
	v_add3_u32 v3, v6, v3, v5
	v_cndmask_b32_e64 v1, 0, 0x52f, vcc_lo
	v_cmp_gt_u64_e32 vcc_lo, s[4:5], v[7:8]
	v_lshlrev_b64 v[46:47], 3, v[2:3]
	v_lshlrev_b32_e32 v58, 3, v1
	s_and_saveexec_b32 s1, vcc_lo
	s_cbranch_execz .LBB0_13
; %bb.10:
	v_mov_b32_e32 v45, 0
	v_add_co_u32 v0, s0, s2, v46
	v_add_co_ci_u32_e64 v2, s0, s3, v47, s0
	v_lshlrev_b64 v[3:4], 3, v[44:45]
	s_mov_b32 s4, exec_lo
	v_add_co_u32 v3, s0, v0, v3
	v_add_co_ci_u32_e64 v4, s0, v2, v4, s0
	v_add_co_u32 v5, s0, 0x800, v3
	v_add_co_ci_u32_e64 v6, s0, 0, v4, s0
	;; [unrolled: 2-line block ×4, first 2 shown]
	s_clause 0x3
	global_load_dwordx2 v[9:10], v[3:4], off
	global_load_dwordx2 v[11:12], v[3:4], off offset:816
	global_load_dwordx2 v[13:14], v[3:4], off offset:1632
	;; [unrolled: 1-line block ×3, first 2 shown]
	v_add_co_u32 v3, s0, 0x2000, v3
	v_add_co_ci_u32_e64 v4, s0, 0, v4, s0
	s_clause 0x8
	global_load_dwordx2 v[19:20], v[5:6], off offset:1216
	global_load_dwordx2 v[5:6], v[5:6], off offset:2032
	;; [unrolled: 1-line block ×9, first 2 shown]
	v_lshlrev_b32_e32 v3, 3, v44
	v_add3_u32 v3, 0, v58, v3
	v_add_nc_u32_e32 v4, 0x400, v3
	v_add_nc_u32_e32 v31, 0x800, v3
	;; [unrolled: 1-line block ×5, first 2 shown]
	s_waitcnt vmcnt(11)
	ds_write2_b64 v3, v[9:10], v[11:12] offset1:102
	s_waitcnt vmcnt(9)
	ds_write2_b64 v4, v[13:14], v[15:16] offset0:76 offset1:178
	s_waitcnt vmcnt(7)
	ds_write2_b64 v31, v[19:20], v[5:6] offset0:152 offset1:254
	;; [unrolled: 2-line block ×5, first 2 shown]
	s_waitcnt vmcnt(0)
	ds_write_b64 v3, v[29:30] offset:9792
	v_cmpx_eq_u32_e32 0x65, v44
	s_cbranch_execz .LBB0_12
; %bb.11:
	v_add_co_u32 v4, s0, 0x2800, v0
	v_add_co_ci_u32_e64 v5, s0, 0, v2, s0
	v_mov_b32_e32 v44, 0x65
	global_load_dwordx2 v[4:5], v[4:5], off offset:368
	s_waitcnt vmcnt(0)
	ds_write_b64 v3, v[4:5] offset:9800
.LBB0_12:
	s_or_b32 exec_lo, exec_lo, s4
.LBB0_13:
	s_or_b32 exec_lo, exec_lo, s1
	v_lshl_add_u32 v56, v1, 3, 0
	v_lshlrev_b32_e32 v4, 3, v44
	s_waitcnt lgkmcnt(0)
	s_barrier
	buffer_gl0_inv
	s_add_u32 s1, s8, 0x28e8
	v_add_nc_u32_e32 v57, v56, v4
	v_sub_nc_u32_e32 v5, v56, v4
	s_addc_u32 s4, s9, 0
	s_mov_b32 s5, exec_lo
	ds_read_b32 v6, v57
	ds_read_b32 v7, v5 offset:10608
                                        ; implicit-def: $vgpr0_vgpr1
	s_waitcnt lgkmcnt(0)
	v_add_f32_e32 v2, v7, v6
	v_sub_f32_e32 v3, v6, v7
	v_cmpx_ne_u32_e32 0, v44
	s_xor_b32 s5, exec_lo, s5
	s_cbranch_execz .LBB0_15
; %bb.14:
	v_mov_b32_e32 v45, 0
	v_add_f32_e32 v8, v7, v6
	v_sub_f32_e32 v9, v6, v7
	v_lshlrev_b64 v[0:1], 3, v[44:45]
	v_add_co_u32 v0, s0, s1, v0
	v_add_co_ci_u32_e64 v1, s0, s4, v1, s0
	global_load_dwordx2 v[0:1], v[0:1], off
	ds_read_b32 v2, v5 offset:10612
	ds_read_b32 v3, v57 offset:4
	s_waitcnt lgkmcnt(0)
	v_add_f32_e32 v10, v2, v3
	v_sub_f32_e32 v2, v3, v2
	s_waitcnt vmcnt(0)
	v_fma_f32 v6, -v9, v1, v8
	v_fma_f32 v7, v10, v1, -v2
	v_fma_f32 v11, v9, v1, v8
	v_fma_f32 v3, v10, v1, v2
	v_fmac_f32_e32 v6, v0, v10
	v_fmac_f32_e32 v7, v9, v0
	v_fma_f32 v2, -v0, v10, v11
	v_fmac_f32_e32 v3, v9, v0
	v_mov_b32_e32 v0, v44
	v_mov_b32_e32 v1, v45
	ds_write_b64 v5, v[6:7] offset:10608
.LBB0_15:
	s_andn2_saveexec_b32 s0, s5
	s_cbranch_execz .LBB0_17
; %bb.16:
	ds_read_b64 v[0:1], v56 offset:5304
	s_waitcnt lgkmcnt(0)
	v_add_f32_e32 v6, v0, v0
	v_mul_f32_e32 v7, -2.0, v1
	v_mov_b32_e32 v0, 0
	v_mov_b32_e32 v1, 0
	ds_write_b64 v56, v[6:7] offset:5304
.LBB0_17:
	s_or_b32 exec_lo, exec_lo, s0
	v_lshlrev_b64 v[0:1], 3, v[0:1]
	v_add_co_u32 v0, s0, s1, v0
	v_add_co_ci_u32_e64 v1, s0, s4, v1, s0
	s_mov_b32 s1, exec_lo
	v_add_co_u32 v10, s0, 0x800, v0
	s_clause 0x1
	global_load_dwordx2 v[6:7], v[0:1], off offset:816
	global_load_dwordx2 v[8:9], v[0:1], off offset:1632
	v_add_co_ci_u32_e64 v11, s0, 0, v1, s0
	s_clause 0x2
	global_load_dwordx2 v[12:13], v[10:11], off offset:400
	global_load_dwordx2 v[14:15], v[10:11], off offset:1216
	;; [unrolled: 1-line block ×3, first 2 shown]
	ds_write_b64 v57, v[2:3]
	ds_read_b64 v[2:3], v57 offset:816
	ds_read_b64 v[16:17], v5 offset:9792
	s_waitcnt lgkmcnt(0)
	v_add_f32_e32 v18, v2, v16
	v_add_f32_e32 v19, v17, v3
	v_sub_f32_e32 v20, v2, v16
	v_sub_f32_e32 v2, v3, v17
	s_waitcnt vmcnt(4)
	v_fma_f32 v21, v20, v7, v18
	v_fma_f32 v3, v19, v7, v2
	v_fma_f32 v16, -v20, v7, v18
	v_fma_f32 v17, v19, v7, -v2
	v_fma_f32 v2, -v6, v19, v21
	v_fmac_f32_e32 v3, v20, v6
	v_fmac_f32_e32 v16, v6, v19
	v_fmac_f32_e32 v17, v20, v6
	ds_write_b64 v57, v[2:3] offset:816
	ds_write_b64 v5, v[16:17] offset:9792
	ds_read_b64 v[2:3], v57 offset:1632
	ds_read_b64 v[6:7], v5 offset:8976
	s_waitcnt lgkmcnt(0)
	v_add_f32_e32 v16, v2, v6
	v_add_f32_e32 v17, v7, v3
	v_sub_f32_e32 v18, v2, v6
	v_sub_f32_e32 v2, v3, v7
	s_waitcnt vmcnt(3)
	v_fma_f32 v19, v18, v9, v16
	v_fma_f32 v3, v17, v9, v2
	v_fma_f32 v6, -v18, v9, v16
	v_fma_f32 v7, v17, v9, -v2
	v_fma_f32 v2, -v8, v17, v19
	v_fmac_f32_e32 v3, v18, v8
	v_fmac_f32_e32 v6, v8, v17
	v_fmac_f32_e32 v7, v18, v8
	ds_write_b64 v57, v[2:3] offset:1632
	ds_write_b64 v5, v[6:7] offset:8976
	;; [unrolled: 18-line block ×5, first 2 shown]
	v_cmpx_gt_u32_e32 51, v44
	s_cbranch_execz .LBB0_19
; %bb.18:
	v_add_co_u32 v0, s0, 0x1000, v0
	v_add_co_ci_u32_e64 v1, s0, 0, v1, s0
	global_load_dwordx2 v[0:1], v[0:1], off offset:800
	ds_read_b64 v[2:3], v57 offset:4896
	ds_read_b64 v[6:7], v5 offset:5712
	s_waitcnt lgkmcnt(0)
	v_add_f32_e32 v8, v2, v6
	v_add_f32_e32 v9, v7, v3
	v_sub_f32_e32 v10, v2, v6
	v_sub_f32_e32 v3, v3, v7
	s_waitcnt vmcnt(0)
	v_fma_f32 v11, v10, v1, v8
	v_fma_f32 v2, v9, v1, v3
	v_fma_f32 v6, -v10, v1, v8
	v_fma_f32 v7, v9, v1, -v3
	v_fma_f32 v1, -v0, v9, v11
	v_fmac_f32_e32 v2, v10, v0
	v_fmac_f32_e32 v6, v0, v9
	;; [unrolled: 1-line block ×3, first 2 shown]
	ds_write_b64 v57, v[1:2] offset:4896
	ds_write_b64 v5, v[6:7] offset:5712
.LBB0_19:
	s_or_b32 exec_lo, exec_lo, s1
	v_add3_u32 v45, 0, v4, v58
	s_waitcnt lgkmcnt(0)
	s_barrier
	buffer_gl0_inv
	v_add_nc_u32_e32 v0, 0x2000, v45
	s_barrier
	buffer_gl0_inv
	v_add_nc_u32_e32 v59, 0x1c00, v45
	ds_read2_b64 v[24:27], v45 offset0:78 offset1:156
	ds_read2_b64 v[12:15], v0 offset0:146 offset1:224
	v_add_nc_u32_e32 v0, 0x400, v45
	v_add_nc_u32_e32 v60, 0x800, v45
	;; [unrolled: 1-line block ×4, first 2 shown]
	ds_read2_b64 v[20:23], v0 offset0:106 offset1:184
	ds_read2_b64 v[16:19], v59 offset0:118 offset1:196
	ds_read_b64 v[2:3], v57
	v_add_nc_u32_e32 v0, 0x1800, v45
	ds_read2_b64 v[32:35], v60 offset0:134 offset1:212
	ds_read2_b64 v[28:31], v0 offset0:90 offset1:168
	;; [unrolled: 1-line block ×4, first 2 shown]
	s_mov_b32 s1, exec_lo
	s_waitcnt lgkmcnt(0)
	s_barrier
	buffer_gl0_inv
	v_sub_f32_e32 v48, v24, v14
	v_sub_f32_e32 v53, v25, v15
	v_add_f32_e32 v67, v14, v24
	v_add_f32_e32 v72, v15, v25
	v_sub_f32_e32 v153, v26, v12
	v_sub_f32_e32 v52, v27, v13
	v_mul_f32_e32 v82, 0xbeb8f4ab, v53
	v_mul_f32_e32 v87, 0xbeb8f4ab, v48
	v_add_f32_e32 v65, v12, v26
	v_add_f32_e32 v68, v13, v27
	v_sub_f32_e32 v136, v20, v18
	v_sub_f32_e32 v51, v21, v19
	v_mul_f32_e32 v81, 0xbf2c7751, v52
	v_mul_f32_e32 v86, 0xbf2c7751, v153
	v_fmamk_f32 v0, v67, 0x3f6eb680, v82
	v_fma_f32 v1, 0x3f6eb680, v72, -v87
	v_add_f32_e32 v64, v18, v20
	v_add_f32_e32 v66, v19, v21
	v_sub_f32_e32 v50, v23, v17
	v_sub_f32_e32 v54, v22, v16
	v_mul_f32_e32 v80, 0xbf65296c, v51
	v_mul_f32_e32 v84, 0xbf65296c, v136
	v_fmamk_f32 v4, v65, 0x3f3d2fb0, v81
	v_add_f32_e32 v0, v2, v0
	v_fma_f32 v5, 0x3f3d2fb0, v68, -v86
	v_add_f32_e32 v1, v3, v1
	v_add_f32_e32 v63, v16, v22
	v_mul_f32_e32 v79, 0xbf7ee86f, v50
	v_fmamk_f32 v6, v64, 0x3ee437d1, v80
	v_add_f32_e32 v0, v4, v0
	v_add_f32_e32 v70, v17, v23
	v_fma_f32 v4, 0x3ee437d1, v66, -v84
	v_add_f32_e32 v1, v5, v1
	v_sub_f32_e32 v55, v33, v31
	v_mul_f32_e32 v88, 0xbf7ee86f, v54
	v_sub_f32_e32 v144, v32, v30
	v_fmamk_f32 v7, v63, 0x3dbcf732, v79
	v_add_f32_e32 v0, v6, v0
	v_add_f32_e32 v69, v30, v32
	v_mul_f32_e32 v83, 0xbf763a35, v55
	v_add_f32_e32 v1, v4, v1
	v_fma_f32 v4, 0x3dbcf732, v70, -v88
	v_add_f32_e32 v73, v31, v33
	v_mul_f32_e32 v89, 0xbf763a35, v144
	v_sub_f32_e32 v139, v35, v29
	v_add_f32_e32 v0, v7, v0
	v_fmamk_f32 v5, v69, 0xbe8c1d8e, v83
	v_add_f32_e32 v1, v4, v1
	v_sub_f32_e32 v143, v34, v28
	v_fma_f32 v4, 0xbe8c1d8e, v73, -v89
	v_add_f32_e32 v71, v28, v34
	v_mul_f32_e32 v85, 0xbf4c4adb, v139
	v_sub_f32_e32 v154, v41, v39
	v_add_f32_e32 v0, v5, v0
	v_add_f32_e32 v74, v29, v35
	v_mul_f32_e32 v90, 0xbf4c4adb, v143
	v_add_f32_e32 v1, v4, v1
	v_fmamk_f32 v4, v71, 0xbf1a4643, v85
	v_sub_f32_e32 v155, v40, v38
	v_add_f32_e32 v75, v38, v40
	v_mul_f32_e32 v91, 0xbf06c442, v154
	v_fma_f32 v5, 0xbf1a4643, v74, -v90
	v_add_f32_e32 v76, v39, v41
	v_mul_f32_e32 v92, 0xbf06c442, v155
	v_add_f32_e32 v0, v4, v0
	v_fmamk_f32 v4, v75, 0xbf59a7d5, v91
	v_mul_f32_e32 v100, 0xbf2c7751, v53
	v_add_f32_e32 v1, v5, v1
	v_fma_f32 v5, 0xbf59a7d5, v76, -v92
	v_mul_f32_e32 v101, 0xbf7ee86f, v52
	v_add_f32_e32 v0, v4, v0
	v_fmamk_f32 v4, v67, 0x3f3d2fb0, v100
	v_mul_f32_e32 v109, 0xbf2c7751, v48
	v_add_f32_e32 v1, v5, v1
	v_fmamk_f32 v5, v65, 0x3dbcf732, v101
	v_mul_f32_e32 v110, 0xbf7ee86f, v153
	v_add_f32_e32 v4, v2, v4
	v_fma_f32 v6, 0x3f3d2fb0, v72, -v109
	v_mul_f32_e32 v102, 0xbf4c4adb, v51
	v_mul_f32_e32 v108, 0xbf4c4adb, v136
	;; [unrolled: 1-line block ×3, first 2 shown]
	v_add_f32_e32 v4, v5, v4
	v_add_f32_e32 v5, v3, v6
	v_fma_f32 v6, 0x3dbcf732, v68, -v110
	v_fmamk_f32 v7, v64, 0xbf1a4643, v102
	v_mul_f32_e32 v106, 0xbe3c28d5, v54
	v_mul_f32_e32 v103, 0x3f06c442, v55
	v_sub_f32_e32 v162, v42, v36
	v_add_f32_e32 v5, v6, v5
	v_add_f32_e32 v4, v7, v4
	v_fma_f32 v6, 0xbf1a4643, v66, -v108
	v_fmamk_f32 v7, v63, 0xbf7ba420, v99
	v_mul_f32_e32 v104, 0x3f06c442, v144
	v_mul_f32_e32 v95, 0x3f763a35, v139
	v_add_f32_e32 v78, v37, v43
	v_add_f32_e32 v5, v6, v5
	;; [unrolled: 1-line block ×3, first 2 shown]
	v_fma_f32 v6, 0xbf7ba420, v70, -v106
	v_fmamk_f32 v7, v69, 0xbf59a7d5, v103
	v_mul_f32_e32 v94, 0xbe3c28d5, v162
	v_mul_f32_e32 v105, 0x3f763a35, v143
	;; [unrolled: 1-line block ×3, first 2 shown]
	v_add_f32_e32 v5, v6, v5
	v_fma_f32 v6, 0xbf59a7d5, v73, -v104
	v_add_f32_e32 v4, v7, v4
	v_fmamk_f32 v7, v71, 0xbe8c1d8e, v95
	v_fma_f32 v9, 0xbf7ba420, v78, -v94
	v_mul_f32_e32 v96, 0x3f65296c, v154
	v_add_f32_e32 v5, v6, v5
	v_fma_f32 v6, 0xbe8c1d8e, v74, -v105
	v_add_f32_e32 v4, v7, v4
	v_fmamk_f32 v7, v67, 0x3ee437d1, v117
	v_mul_f32_e32 v118, 0xbf4c4adb, v52
	v_add_f32_e32 v1, v9, v1
	v_add_f32_e32 v5, v6, v5
	v_fmamk_f32 v6, v75, 0x3ee437d1, v96
	v_add_f32_e32 v7, v2, v7
	v_fmamk_f32 v9, v65, 0xbf1a4643, v118
	v_mul_f32_e32 v116, 0x3e3c28d5, v51
	v_sub_f32_e32 v157, v43, v37
	v_add_f32_e32 v4, v6, v4
	v_mul_f32_e32 v114, 0x3f763a35, v50
	v_add_f32_e32 v6, v9, v7
	v_fmamk_f32 v7, v64, 0xbf7ba420, v116
	v_add_f32_e32 v77, v36, v42
	v_mul_f32_e32 v93, 0xbe3c28d5, v157
	v_mul_f32_e32 v128, 0xbf65296c, v48
	;; [unrolled: 1-line block ×3, first 2 shown]
	v_add_f32_e32 v6, v7, v6
	v_fmamk_f32 v7, v63, 0xbe8c1d8e, v114
	v_fmamk_f32 v8, v77, 0xbf7ba420, v93
	v_mul_f32_e32 v107, 0x3f65296c, v155
	v_fma_f32 v10, 0x3ee437d1, v72, -v128
	v_mul_f32_e32 v130, 0xbf4c4adb, v153
	v_add_f32_e32 v6, v7, v6
	v_fmamk_f32 v7, v69, 0x3f3d2fb0, v115
	v_mul_f32_e32 v113, 0xbeb8f4ab, v139
	v_add_f32_e32 v0, v8, v0
	v_fma_f32 v8, 0x3ee437d1, v76, -v107
	v_mul_f32_e32 v97, 0x3eb8f4ab, v157
	v_add_f32_e32 v10, v3, v10
	v_fma_f32 v11, 0xbf1a4643, v68, -v130
	v_mul_f32_e32 v126, 0x3e3c28d5, v136
	v_add_f32_e32 v6, v7, v6
	v_fmamk_f32 v7, v71, 0x3f6eb680, v113
	v_mul_f32_e32 v112, 0xbf7ee86f, v154
	v_add_f32_e32 v5, v8, v5
	v_fmamk_f32 v8, v77, 0x3f6eb680, v97
	v_add_f32_e32 v10, v11, v10
	v_fma_f32 v11, 0xbf7ba420, v66, -v126
	v_mul_f32_e32 v124, 0x3f763a35, v54
	v_add_f32_e32 v7, v7, v6
	v_fmamk_f32 v49, v75, 0x3dbcf732, v112
	v_mul_f32_e32 v111, 0xbf06c442, v157
	v_mul_f32_e32 v98, 0x3eb8f4ab, v162
	v_add_f32_e32 v10, v11, v10
	v_fma_f32 v11, 0xbe8c1d8e, v70, -v124
	v_mul_f32_e32 v121, 0x3f2c7751, v144
	v_add_f32_e32 v6, v8, v4
	v_add_f32_e32 v4, v49, v7
	v_fmamk_f32 v8, v77, 0xbf59a7d5, v111
	v_mul_f32_e32 v166, 0xbf7ee86f, v53
	v_fma_f32 v9, 0x3f6eb680, v78, -v98
	v_add_f32_e32 v10, v11, v10
	v_fma_f32 v11, 0x3f3d2fb0, v73, -v121
	v_add_f32_e32 v4, v8, v4
	v_fmamk_f32 v8, v67, 0x3dbcf732, v166
	v_mul_f32_e32 v167, 0xbe3c28d5, v52
	v_add_f32_e32 v7, v9, v5
	v_add_f32_e32 v5, v11, v10
	v_mul_f32_e32 v164, 0x3f763a35, v51
	v_add_f32_e32 v8, v2, v8
	v_fmamk_f32 v10, v65, 0xbf7ba420, v167
	v_mul_f32_e32 v165, 0x3eb8f4ab, v50
	v_mul_f32_e32 v158, 0xbf65296c, v55
	;; [unrolled: 1-line block ×4, first 2 shown]
	v_add_f32_e32 v8, v10, v8
	v_fmamk_f32 v10, v64, 0xbe8c1d8e, v164
	v_mul_f32_e32 v186, 0xbf7ee86f, v48
	v_mul_f32_e32 v197, 0xbf763a35, v53
	;; [unrolled: 1-line block ×4, first 2 shown]
	v_add_f32_e32 v8, v10, v8
	v_fmamk_f32 v10, v63, 0x3f6eb680, v165
	v_fma_f32 v9, 0x3dbcf732, v72, -v186
	v_mul_f32_e32 v200, 0x3f06c442, v52
	v_fma_f32 v119, 0xbe8c1d8e, v72, -v205
	v_mul_f32_e32 v206, 0x3f06c442, v153
	v_add_f32_e32 v8, v10, v8
	v_fmamk_f32 v10, v69, 0x3ee437d1, v158
	v_add_f32_e32 v9, v3, v9
	v_fma_f32 v11, 0xbf7ba420, v68, -v187
	v_mul_f32_e32 v188, 0x3f763a35, v136
	v_fmamk_f32 v120, v65, 0xbf59a7d5, v200
	v_add_f32_e32 v8, v10, v8
	v_fmamk_f32 v10, v71, 0xbf59a7d5, v160
	v_mul_f32_e32 v199, 0x3f2c7751, v51
	v_add_f32_e32 v119, v3, v119
	v_fma_f32 v122, 0xbf59a7d5, v68, -v206
	v_mul_f32_e32 v204, 0x3f2c7751, v136
	v_add_f32_e32 v8, v10, v8
	v_fmamk_f32 v10, v75, 0xbf1a4643, v161
	v_add_f32_e32 v9, v11, v9
	v_fma_f32 v11, 0xbe8c1d8e, v66, -v188
	v_mul_f32_e32 v189, 0x3eb8f4ab, v54
	v_mul_f32_e32 v198, 0xbf65296c, v50
	v_add_f32_e32 v8, v10, v8
	v_fmamk_f32 v10, v67, 0xbe8c1d8e, v197
	v_add_f32_e32 v119, v122, v119
	v_fma_f32 v122, 0x3f3d2fb0, v66, -v204
	v_mul_f32_e32 v203, 0xbf65296c, v54
	v_add_f32_e32 v9, v11, v9
	v_add_f32_e32 v10, v2, v10
	v_fma_f32 v11, 0x3f6eb680, v70, -v189
	v_mul_f32_e32 v185, 0xbf65296c, v144
	v_mul_f32_e32 v193, 0xbe3c28d5, v55
	v_add_f32_e32 v119, v122, v119
	v_add_f32_e32 v10, v120, v10
	v_fmamk_f32 v120, v64, 0x3f3d2fb0, v199
	v_fma_f32 v122, 0x3ee437d1, v70, -v203
	v_mul_f32_e32 v202, 0xbe3c28d5, v144
	v_mul_f32_e32 v131, 0xbeb8f4ab, v143
	v_add_f32_e32 v9, v11, v9
	v_add_f32_e32 v10, v120, v10
	v_fmamk_f32 v120, v63, 0x3ee437d1, v198
	v_fma_f32 v11, 0x3ee437d1, v73, -v185
	v_mul_f32_e32 v183, 0xbf06c442, v143
	v_mul_f32_e32 v194, 0x3f7ee86f, v139
	v_add_f32_e32 v119, v122, v119
	v_add_f32_e32 v10, v120, v10
	v_fmamk_f32 v120, v69, 0xbf7ba420, v193
	v_fma_f32 v122, 0xbf7ba420, v73, -v202
	v_mul_f32_e32 v201, 0x3f7ee86f, v143
	v_fma_f32 v49, 0x3f6eb680, v74, -v131
	v_mul_f32_e32 v140, 0xbf7ee86f, v155
	v_add_f32_e32 v9, v11, v9
	v_fma_f32 v11, 0xbf59a7d5, v74, -v183
	v_mul_f32_e32 v184, 0x3f4c4adb, v155
	v_add_f32_e32 v10, v120, v10
	v_fmamk_f32 v120, v71, 0x3dbcf732, v194
	v_mul_f32_e32 v192, 0xbeb8f4ab, v154
	v_add_f32_e32 v119, v122, v119
	v_fma_f32 v122, 0x3dbcf732, v74, -v201
	v_mul_f32_e32 v196, 0xbeb8f4ab, v155
	v_add_f32_e32 v5, v49, v5
	v_fma_f32 v49, 0x3dbcf732, v76, -v140
	;; [unrolled: 3-line block ×3, first 2 shown]
	v_mul_f32_e32 v168, 0x3f2c7751, v157
	v_mul_f32_e32 v190, 0x3f2c7751, v162
	v_add_f32_e32 v10, v120, v10
	v_fmamk_f32 v120, v75, 0x3f6eb680, v192
	v_mul_f32_e32 v191, 0xbf4c4adb, v157
	v_add_f32_e32 v119, v122, v119
	v_fma_f32 v122, 0x3f6eb680, v76, -v196
	v_mul_f32_e32 v195, 0xbf4c4adb, v162
	v_add_f32_e32 v5, v49, v5
	v_fma_f32 v49, 0xbf59a7d5, v78, -v145
	v_add_f32_e32 v9, v11, v9
	v_fmamk_f32 v11, v77, 0x3f3d2fb0, v168
	v_fma_f32 v123, 0x3f3d2fb0, v78, -v190
	v_add_f32_e32 v120, v120, v10
	v_fmamk_f32 v125, v77, 0xbf1a4643, v191
	v_add_f32_e32 v119, v122, v119
	v_fma_f32 v122, 0xbf1a4643, v78, -v195
	v_add_f32_e32 v5, v49, v5
	v_add_f32_e32 v10, v11, v8
	;; [unrolled: 1-line block ×5, first 2 shown]
	v_cmpx_gt_u32_e32 0x4e, v44
	s_cbranch_execz .LBB0_21
; %bb.20:
	v_mul_f32_e32 v134, 0xbe3c28d5, v48
	v_mul_f32_e32 v132, 0x3eb8f4ab, v153
	;; [unrolled: 1-line block ×5, first 2 shown]
	v_fmamk_f32 v49, v72, 0xbf7ba420, v134
	v_fmamk_f32 v129, v68, 0x3f6eb680, v132
	v_fma_f32 v127, 0xbf7ba420, v67, -v133
	v_mul_f32_e32 v120, 0x3f2c7751, v54
	v_mul_f32_e32 v125, 0xbf06c442, v51
	v_add_f32_e32 v49, v3, v49
	v_fma_f32 v135, 0x3f6eb680, v65, -v123
	v_add_f32_e32 v137, v2, v127
	v_fmamk_f32 v138, v66, 0xbf59a7d5, v122
	v_mul_f32_e32 v119, 0xbf4c4adb, v144
	v_add_f32_e32 v49, v129, v49
	v_mul_f32_e32 v127, 0x3f2c7751, v50
	v_fma_f32 v141, 0xbf59a7d5, v64, -v125
	v_add_f32_e32 v135, v135, v137
	v_fmamk_f32 v137, v70, 0x3f3d2fb0, v120
	v_add_f32_e32 v49, v138, v49
	v_mul_f32_e32 v129, 0xbf4c4adb, v55
	v_fma_f32 v138, 0x3f3d2fb0, v63, -v127
	v_add_f32_e32 v141, v141, v135
	v_mul_f32_e32 v135, 0x3f65296c, v143
	v_fmamk_f32 v146, v73, 0xbf1a4643, v119
	v_add_f32_e32 v49, v137, v49
	v_fma_f32 v137, 0xbf1a4643, v69, -v129
	v_add_f32_e32 v141, v138, v141
	v_mul_f32_e32 v138, 0x3f65296c, v139
	v_mul_f32_e32 v142, 0xbf763a35, v155
	v_fmamk_f32 v147, v74, 0x3ee437d1, v135
	v_add_f32_e32 v49, v146, v49
	v_add_f32_e32 v141, v137, v141
	v_fma_f32 v146, 0x3ee437d1, v71, -v138
	v_mul_f32_e32 v137, 0xbf763a35, v154
	v_fmamk_f32 v148, v76, 0xbe8c1d8e, v142
	v_add_f32_e32 v49, v147, v49
	v_mul_f32_e32 v147, 0x3f7ee86f, v162
	v_add_f32_e32 v146, v146, v141
	v_fma_f32 v149, 0xbe8c1d8e, v75, -v137
	v_mul_f32_e32 v159, 0xbf06c442, v48
	v_add_f32_e32 v49, v148, v49
	v_fmamk_f32 v148, v78, 0x3dbcf732, v147
	v_mul_f32_e32 v156, 0xbf06c442, v53
	v_add_f32_e32 v163, v149, v146
	v_fmamk_f32 v146, v72, 0xbf59a7d5, v159
	v_mul_f32_e32 v173, 0x3f65296c, v153
	v_add_f32_e32 v49, v148, v49
	v_fma_f32 v149, 0xbf59a7d5, v67, -v156
	v_mul_f32_e32 v148, 0x3f65296c, v52
	v_add_f32_e32 v146, v3, v146
	v_fmamk_f32 v150, v68, 0x3ee437d1, v173
	v_mul_f32_e32 v175, 0xbf7ee86f, v136
	v_add_f32_e32 v151, v2, v149
	v_fma_f32 v152, 0x3ee437d1, v65, -v148
	;; [unrolled: 6-line block ×5, first 2 shown]
	v_mul_f32_e32 v152, 0xbe3c28d5, v139
	v_mul_f32_e32 v141, 0x3f7ee86f, v157
	v_add_f32_e32 v169, v169, v146
	v_fmamk_f32 v177, v74, 0xbf7ba420, v182
	v_add_f32_e32 v172, v174, v172
	v_fma_f32 v174, 0xbf7ba420, v71, -v152
	v_mul_f32_e32 v146, 0x3f2c7751, v154
	v_fma_f32 v170, 0x3dbcf732, v77, -v141
	v_mul_f32_e32 v171, 0x3f2c7751, v155
	v_add_f32_e32 v177, v177, v169
	v_mul_f32_e32 v169, 0xbf4c4adb, v48
	v_add_f32_e32 v172, v174, v172
	v_fma_f32 v174, 0x3f3d2fb0, v75, -v146
	v_fmamk_f32 v178, v76, 0x3f3d2fb0, v171
	v_add_f32_e32 v48, v170, v163
	v_fmamk_f32 v170, v72, 0xbf1a4643, v169
	v_mul_f32_e32 v163, 0x3f763a35, v153
	v_add_f32_e32 v207, v174, v172
	v_mul_f32_e32 v174, 0xbf4c4adb, v53
	v_add_f32_e32 v180, v178, v177
	v_add_f32_e32 v53, v3, v170
	v_fmamk_f32 v172, v68, 0xbe8c1d8e, v163
	v_mul_f32_e32 v170, 0xbeb8f4ab, v136
	v_fma_f32 v178, 0xbf1a4643, v67, -v174
	v_mul_f32_e32 v177, 0x3f763a35, v52
	v_mul_f32_e32 v153, 0xbf763a35, v162
	v_add_f32_e32 v52, v172, v53
	v_fmamk_f32 v53, v66, 0x3f6eb680, v170
	v_mul_f32_e32 v172, 0xbf06c442, v54
	v_add_f32_e32 v54, v2, v178
	v_fma_f32 v179, 0xbe8c1d8e, v65, -v177
	v_mul_f32_e32 v178, 0xbeb8f4ab, v51
	v_fmamk_f32 v136, v78, 0xbe8c1d8e, v153
	v_add_f32_e32 v52, v53, v52
	v_fmamk_f32 v53, v70, 0xbf59a7d5, v172
	v_mul_f32_e32 v144, 0x3f7ee86f, v144
	v_add_f32_e32 v54, v179, v54
	v_fma_f32 v208, 0x3f6eb680, v64, -v178
	v_mul_f32_e32 v179, 0xbf06c442, v50
	v_add_f32_e32 v51, v136, v180
	v_add_f32_e32 v50, v53, v52
	v_fmamk_f32 v52, v73, 0x3dbcf732, v144
	v_add_f32_e32 v53, v208, v54
	v_fma_f32 v54, 0xbf59a7d5, v63, -v179
	v_mul_f32_e32 v180, 0x3f7ee86f, v55
	v_mul_f32_e32 v143, 0xbf2c7751, v143
	v_add_f32_e32 v50, v52, v50
	v_mul_f32_e32 v139, 0xbf2c7751, v139
	v_add_f32_e32 v52, v54, v53
	v_fma_f32 v53, 0x3dbcf732, v69, -v180
	v_fmamk_f32 v54, v74, 0x3f3d2fb0, v143
	v_mul_f32_e32 v136, 0xbf763a35, v157
	v_mul_f32_e32 v155, 0xbe3c28d5, v155
	;; [unrolled: 1-line block ×3, first 2 shown]
	v_add_f32_e32 v52, v53, v52
	v_fma_f32 v53, 0x3f3d2fb0, v71, -v139
	v_add_f32_e32 v54, v54, v50
	v_mul_f32_e32 v50, 0xbe8c1d8e, v72
	v_fma_f32 v55, 0xbe8c1d8e, v77, -v136
	v_fmamk_f32 v208, v76, 0xbf7ba420, v155
	v_add_f32_e32 v52, v53, v52
	v_mul_f32_e32 v53, 0xbf59a7d5, v68
	v_add_f32_e32 v205, v205, v50
	v_add_f32_e32 v50, v55, v207
	;; [unrolled: 1-line block ×3, first 2 shown]
	v_mul_f32_e32 v207, 0xbf59a7d5, v65
	v_add_f32_e32 v53, v206, v53
	v_add_f32_e32 v55, v3, v205
	v_mul_f32_e32 v205, 0x3f3d2fb0, v66
	v_fmamk_f32 v206, v78, 0x3ee437d1, v162
	v_sub_f32_e32 v200, v207, v200
	v_add_f32_e32 v25, v3, v25
	v_add_f32_e32 v53, v53, v55
	v_mul_f32_e32 v55, 0xbe8c1d8e, v67
	v_add_f32_e32 v204, v204, v205
	v_add_f32_e32 v24, v2, v24
	;; [unrolled: 1-line block ×3, first 2 shown]
	v_fmac_f32_e32 v133, 0xbf7ba420, v67
	v_sub_f32_e32 v55, v55, v197
	v_add_f32_e32 v197, v204, v53
	v_add_f32_e32 v53, v206, v54
	v_mul_f32_e32 v54, 0x3f3d2fb0, v64
	v_add_f32_e32 v25, v25, v21
	v_add_f32_e32 v55, v2, v55
	;; [unrolled: 1-line block ×3, first 2 shown]
	v_fmac_f32_e32 v123, 0x3f6eb680, v65
	v_sub_f32_e32 v54, v54, v199
	v_mul_f32_e32 v199, 0x3ee437d1, v63
	v_add_f32_e32 v55, v200, v55
	v_add_f32_e32 v23, v25, v23
	;; [unrolled: 1-line block ×3, first 2 shown]
	v_fmac_f32_e32 v125, 0xbf59a7d5, v64
	v_fmac_f32_e32 v127, 0x3f3d2fb0, v63
	v_add_f32_e32 v54, v54, v55
	v_sub_f32_e32 v55, v199, v198
	v_mul_f32_e32 v198, 0xbf7ba420, v69
	v_mul_f32_e32 v199, 0x3f6eb680, v76
	v_add_f32_e32 v23, v23, v33
	v_add_f32_e32 v22, v20, v22
	;; [unrolled: 1-line block ×3, first 2 shown]
	v_mul_f32_e32 v55, 0x3dbcf732, v72
	v_sub_f32_e32 v193, v198, v193
	v_mul_f32_e32 v198, 0x3dbcf732, v71
	v_add_f32_e32 v196, v196, v199
	v_mul_f32_e32 v199, 0xbf7ba420, v68
	v_add_f32_e32 v55, v186, v55
	v_add_f32_e32 v54, v193, v54
	v_sub_f32_e32 v186, v198, v194
	v_mul_f32_e32 v194, 0xbe8c1d8e, v66
	v_add_f32_e32 v187, v187, v199
	v_add_f32_e32 v55, v3, v55
	;; [unrolled: 1-line block ×4, first 2 shown]
	v_mul_f32_e32 v186, 0x3f6eb680, v75
	v_add_f32_e32 v22, v22, v32
	v_add_f32_e32 v55, v187, v55
	;; [unrolled: 1-line block ×3, first 2 shown]
	v_mul_f32_e32 v188, 0x3f6eb680, v70
	v_sub_f32_e32 v186, v186, v192
	v_mul_f32_e32 v194, 0xbf1a4643, v77
	v_add_f32_e32 v23, v23, v41
	v_add_f32_e32 v55, v187, v55
	;; [unrolled: 1-line block ×4, first 2 shown]
	v_mul_f32_e32 v186, 0x3ee437d1, v73
	v_mul_f32_e32 v188, 0x3dbcf732, v67
	v_sub_f32_e32 v189, v194, v191
	v_add_f32_e32 v187, v187, v55
	v_mul_f32_e32 v191, 0xbf7ba420, v65
	v_add_f32_e32 v185, v185, v186
	v_sub_f32_e32 v166, v188, v166
	v_mul_f32_e32 v186, 0xbf59a7d5, v74
	v_add_f32_e32 v22, v22, v34
	v_sub_f32_e32 v167, v191, v167
	v_add_f32_e32 v185, v185, v187
	v_add_f32_e32 v166, v2, v166
	v_mul_f32_e32 v187, 0xbe8c1d8e, v64
	v_add_f32_e32 v183, v183, v186
	v_mul_f32_e32 v186, 0xbf1a4643, v76
	v_mul_f32_e32 v188, 0x3dbcf732, v65
	v_add_f32_e32 v166, v167, v166
	v_sub_f32_e32 v164, v187, v164
	v_add_f32_e32 v167, v183, v185
	v_mul_f32_e32 v183, 0x3f6eb680, v63
	v_add_f32_e32 v184, v184, v186
	v_mul_f32_e32 v186, 0x3ee437d1, v69
	;; [unrolled: 2-line block ×3, first 2 shown]
	v_sub_f32_e32 v165, v183, v165
	v_add_f32_e32 v167, v184, v167
	v_mul_f32_e32 v184, 0x3ee437d1, v72
	v_sub_f32_e32 v158, v186, v158
	v_mul_f32_e32 v186, 0xbf59a7d5, v71
	v_add_f32_e32 v164, v165, v164
	v_mul_f32_e32 v165, 0xbf1a4643, v68
	v_add_f32_e32 v128, v128, v184
	v_add_f32_e32 v166, v190, v166
	v_sub_f32_e32 v160, v186, v160
	v_add_f32_e32 v158, v158, v164
	v_add_f32_e32 v130, v130, v165
	;; [unrolled: 1-line block ×3, first 2 shown]
	v_mul_f32_e32 v164, 0xbf7ba420, v66
	v_mul_f32_e32 v186, 0x3ee437d1, v67
	v_add_f32_e32 v158, v160, v158
	v_mul_f32_e32 v160, 0xbe8c1d8e, v70
	v_add_f32_e32 v128, v130, v128
	;; [unrolled: 2-line block ×3, first 2 shown]
	v_sub_f32_e32 v117, v186, v117
	v_add_f32_e32 v124, v124, v160
	v_mul_f32_e32 v165, 0x3f3d2fb0, v72
	v_sub_f32_e32 v130, v130, v161
	v_add_f32_e32 v126, v126, v128
	v_mul_f32_e32 v128, 0x3f3d2fb0, v77
	v_add_f32_e32 v117, v2, v117
	v_mul_f32_e32 v184, 0x3f3d2fb0, v67
	;; [unrolled: 2-line block ×3, first 2 shown]
	v_sub_f32_e32 v128, v128, v168
	v_add_f32_e32 v124, v124, v126
	v_mul_f32_e32 v126, 0xbf1a4643, v65
	v_mul_f32_e32 v168, 0x3dbcf732, v68
	v_add_f32_e32 v121, v121, v158
	v_add_f32_e32 v160, v128, v130
	v_mul_f32_e32 v130, 0x3f6eb680, v74
	v_sub_f32_e32 v118, v126, v118
	v_mul_f32_e32 v126, 0xbf7ba420, v64
	v_add_f32_e32 v121, v121, v124
	v_add_f32_e32 v109, v109, v165
	;; [unrolled: 1-line block ×3, first 2 shown]
	v_mul_f32_e32 v131, 0x3dbcf732, v76
	v_add_f32_e32 v117, v118, v117
	v_mul_f32_e32 v118, 0xbf59a7d5, v78
	v_add_f32_e32 v161, v166, v167
	;; [unrolled: 2-line block ×3, first 2 shown]
	v_add_f32_e32 v131, v140, v131
	v_sub_f32_e32 v116, v126, v116
	v_add_f32_e32 v118, v145, v118
	v_mul_f32_e32 v145, 0xbe8c1d8e, v63
	v_add_f32_e32 v110, v110, v168
	v_add_f32_e32 v109, v3, v109
	v_sub_f32_e32 v100, v184, v100
	v_add_f32_e32 v23, v23, v43
	v_add_f32_e32 v22, v22, v40
	v_mul_f32_e32 v124, 0xbf1a4643, v64
	v_add_f32_e32 v121, v131, v121
	v_mul_f32_e32 v131, 0xbf7ba420, v70
	v_add_f32_e32 v116, v116, v117
	v_sub_f32_e32 v114, v145, v114
	v_mul_f32_e32 v145, 0x3f3d2fb0, v69
	v_add_f32_e32 v109, v110, v109
	v_add_f32_e32 v108, v108, v166
	v_sub_f32_e32 v101, v188, v101
	v_add_f32_e32 v100, v2, v100
	v_add_f32_e32 v23, v23, v37
	;; [unrolled: 1-line block ×3, first 2 shown]
	v_mul_f32_e32 v126, 0xbf7ba420, v63
	v_add_f32_e32 v114, v114, v116
	v_mul_f32_e32 v116, 0xbf59a7d5, v73
	v_sub_f32_e32 v115, v145, v115
	v_add_f32_e32 v108, v108, v109
	v_add_f32_e32 v106, v106, v131
	v_add_f32_e32 v101, v101, v100
	v_sub_f32_e32 v102, v124, v102
	v_add_f32_e32 v23, v23, v39
	v_add_f32_e32 v22, v22, v36
	v_mul_f32_e32 v167, 0xbf59a7d5, v69
	v_add_f32_e32 v114, v115, v114
	v_mul_f32_e32 v115, 0xbe8c1d8e, v74
	v_mul_f32_e32 v168, 0x3f6eb680, v71
	v_add_f32_e32 v106, v106, v108
	v_add_f32_e32 v104, v104, v116
	;; [unrolled: 1-line block ×3, first 2 shown]
	v_sub_f32_e32 v99, v126, v99
	v_add_f32_e32 v23, v23, v29
	v_add_f32_e32 v22, v22, v38
	v_mul_f32_e32 v166, 0xbe8c1d8e, v71
	v_sub_f32_e32 v113, v168, v113
	v_mul_f32_e32 v168, 0x3ee437d1, v76
	v_add_f32_e32 v102, v104, v106
	v_add_f32_e32 v104, v105, v115
	;; [unrolled: 1-line block ×3, first 2 shown]
	v_sub_f32_e32 v103, v167, v103
	v_add_f32_e32 v23, v23, v31
	v_add_f32_e32 v22, v22, v28
	v_mul_f32_e32 v131, 0x3ee437d1, v75
	v_add_f32_e32 v113, v113, v114
	v_mul_f32_e32 v114, 0x3f6eb680, v78
	v_add_f32_e32 v102, v104, v102
	v_add_f32_e32 v104, v107, v168
	;; [unrolled: 1-line block ×3, first 2 shown]
	v_sub_f32_e32 v95, v166, v95
	v_add_f32_e32 v23, v23, v17
	v_add_f32_e32 v22, v22, v30
	v_mul_f32_e32 v116, 0x3f6eb680, v77
	v_add_f32_e32 v102, v104, v102
	v_add_f32_e32 v27, v98, v114
	;; [unrolled: 1-line block ×3, first 2 shown]
	v_sub_f32_e32 v96, v131, v96
	v_add_f32_e32 v19, v23, v19
	v_add_f32_e32 v16, v22, v16
	v_fma_f32 v22, 0xbf7ba420, v72, -v134
	v_mul_f32_e32 v185, 0x3f6eb680, v67
	v_add_f32_e32 v21, v27, v102
	v_add_f32_e32 v27, v96, v95
	v_sub_f32_e32 v24, v116, v97
	v_add_f32_e32 v13, v19, v13
	v_add_f32_e32 v18, v16, v18
	;; [unrolled: 1-line block ×3, first 2 shown]
	v_fma_f32 v22, 0x3f6eb680, v68, -v132
	v_mul_f32_e32 v164, 0x3f3d2fb0, v65
	v_add_f32_e32 v20, v24, v27
	v_sub_f32_e32 v24, v185, v82
	v_add_f32_e32 v13, v13, v15
	v_add_f32_e32 v12, v18, v12
	;; [unrolled: 1-line block ×3, first 2 shown]
	v_fma_f32 v18, 0xbf59a7d5, v66, -v122
	v_add_f32_e32 v19, v2, v133
	v_mul_f32_e32 v158, 0x3ee437d1, v64
	v_add_f32_e32 v24, v2, v24
	v_sub_f32_e32 v27, v164, v81
	v_add_f32_e32 v12, v12, v14
	v_fma_f32 v14, 0xbf59a7d5, v72, -v159
	v_add_f32_e32 v15, v18, v15
	v_fma_f32 v18, 0x3f3d2fb0, v70, -v120
	v_add_f32_e32 v19, v123, v19
	v_mul_f32_e32 v130, 0x3dbcf732, v63
	v_add_f32_e32 v24, v27, v24
	v_sub_f32_e32 v27, v158, v80
	v_add_f32_e32 v14, v3, v14
	v_fma_f32 v22, 0x3ee437d1, v68, -v173
	v_add_f32_e32 v15, v18, v15
	;; [unrolled: 8-line block ×3, first 2 shown]
	v_fma_f32 v18, 0x3ee437d1, v74, -v135
	v_add_f32_e32 v19, v127, v19
	v_fmac_f32_e32 v129, 0xbf1a4643, v69
	v_mul_f32_e32 v145, 0xbf1a4643, v71
	v_add_f32_e32 v24, v27, v24
	v_sub_f32_e32 v27, v117, v83
	v_add_f32_e32 v14, v22, v14
	v_fma_f32 v22, 0xbf1a4643, v70, -v176
	v_add_f32_e32 v15, v18, v15
	v_fma_f32 v18, 0xbe8c1d8e, v76, -v142
	v_add_f32_e32 v19, v129, v19
	v_fmac_f32_e32 v138, 0x3ee437d1, v71
	v_mul_f32_e32 v183, 0x3f6eb680, v72
	v_mul_f32_e32 v109, 0xbf59a7d5, v75
	v_add_f32_e32 v24, v27, v24
	v_sub_f32_e32 v27, v145, v85
	v_add_f32_e32 v14, v22, v14
	v_fma_f32 v22, 0x3f6eb680, v73, -v181
	v_add_f32_e32 v15, v18, v15
	v_fma_f32 v18, 0x3dbcf732, v78, -v147
	v_add_f32_e32 v19, v138, v19
	v_fmac_f32_e32 v137, 0xbe8c1d8e, v75
	v_mul_f32_e32 v187, 0x3f3d2fb0, v68
	v_mul_f32_e32 v124, 0xbf7ba420, v77
	v_add_f32_e32 v26, v87, v183
	v_add_f32_e32 v24, v27, v24
	v_sub_f32_e32 v27, v109, v91
	v_add_f32_e32 v14, v22, v14
	v_fma_f32 v22, 0xbf7ba420, v74, -v182
	v_add_f32_e32 v15, v18, v15
	v_add_f32_e32 v18, v137, v19
	v_fmac_f32_e32 v141, 0x3dbcf732, v77
	v_mul_f32_e32 v128, 0x3ee437d1, v66
	v_add_f32_e32 v25, v3, v26
	v_add_f32_e32 v26, v86, v187
	;; [unrolled: 1-line block ×3, first 2 shown]
	v_sub_f32_e32 v24, v124, v93
	v_fmac_f32_e32 v156, 0xbf59a7d5, v67
	v_add_f32_e32 v19, v22, v14
	v_add_f32_e32 v14, v141, v18
	v_fma_f32 v18, 0xbf1a4643, v72, -v169
	v_fmac_f32_e32 v174, 0xbf1a4643, v67
	v_mul_f32_e32 v205, 0x3ee437d1, v70
	v_mul_f32_e32 v140, 0x3dbcf732, v70
	v_add_f32_e32 v25, v26, v25
	v_add_f32_e32 v26, v84, v128
	;; [unrolled: 1-line block ×3, first 2 shown]
	v_fma_f32 v22, 0x3f3d2fb0, v76, -v171
	v_add_f32_e32 v23, v2, v156
	v_fmac_f32_e32 v148, 0x3ee437d1, v65
	v_add_f32_e32 v3, v3, v18
	v_fma_f32 v18, 0xbe8c1d8e, v68, -v163
	v_add_f32_e32 v2, v2, v174
	v_fmac_f32_e32 v177, 0xbe8c1d8e, v65
	v_add_f32_e32 v203, v203, v205
	v_mul_f32_e32 v204, 0xbf7ba420, v73
	v_mul_f32_e32 v165, 0xbe8c1d8e, v73
	v_add_f32_e32 v25, v26, v25
	v_add_f32_e32 v26, v88, v140
	;; [unrolled: 1-line block ×4, first 2 shown]
	v_fmac_f32_e32 v149, 0x3dbcf732, v64
	v_add_f32_e32 v3, v18, v3
	v_fma_f32 v18, 0x3f6eb680, v66, -v170
	v_add_f32_e32 v2, v177, v2
	v_fmac_f32_e32 v178, 0x3f6eb680, v64
	v_add_f32_e32 v197, v203, v197
	v_add_f32_e32 v202, v202, v204
	v_mul_f32_e32 v200, 0x3dbcf732, v74
	v_mul_f32_e32 v110, 0xbf1a4643, v74
	v_add_f32_e32 v25, v26, v25
	v_add_f32_e32 v26, v89, v165
	;; [unrolled: 1-line block ×3, first 2 shown]
	v_fmac_f32_e32 v150, 0xbf1a4643, v63
	v_add_f32_e32 v3, v18, v3
	v_fma_f32 v18, 0xbf59a7d5, v70, -v172
	v_add_f32_e32 v2, v178, v2
	v_fmac_f32_e32 v179, 0xbf59a7d5, v63
	v_add_f32_e32 v197, v202, v197
	v_add_f32_e32 v200, v201, v200
	v_mul_f32_e32 v184, 0xbf59a7d5, v76
	v_add_f32_e32 v25, v26, v25
	v_add_f32_e32 v26, v90, v110
	;; [unrolled: 1-line block ×3, first 2 shown]
	v_fmac_f32_e32 v151, 0x3f6eb680, v69
	v_add_f32_e32 v3, v18, v3
	v_fma_f32 v18, 0x3dbcf732, v73, -v144
	v_add_f32_e32 v2, v179, v2
	v_fmac_f32_e32 v180, 0x3dbcf732, v69
	v_mul_f32_e32 v100, 0x3dbcf732, v75
	v_add_f32_e32 v197, v200, v197
	v_mul_f32_e32 v154, 0xbe3c28d5, v154
	v_mul_f32_e32 v108, 0xbf7ba420, v78
	v_add_f32_e32 v25, v26, v25
	v_add_f32_e32 v26, v92, v184
	;; [unrolled: 1-line block ×3, first 2 shown]
	v_fmac_f32_e32 v152, 0xbf7ba420, v71
	v_add_f32_e32 v3, v18, v3
	v_fma_f32 v18, 0x3f3d2fb0, v74, -v143
	v_add_f32_e32 v2, v180, v2
	v_fmac_f32_e32 v139, 0x3f3d2fb0, v71
	v_sub_f32_e32 v112, v100, v112
	v_mul_f32_e32 v186, 0xbf59a7d5, v77
	v_add_f32_e32 v193, v196, v197
	v_mul_f32_e32 v196, 0xbf1a4643, v78
	v_fma_f32 v209, 0xbf7ba420, v75, -v154
	v_mul_f32_e32 v157, 0x3f65296c, v157
	v_add_f32_e32 v25, v26, v25
	v_add_f32_e32 v26, v94, v108
	;; [unrolled: 1-line block ×3, first 2 shown]
	v_fmac_f32_e32 v146, 0x3f3d2fb0, v75
	v_add_f32_e32 v3, v18, v3
	v_fma_f32 v18, 0xbf7ba420, v76, -v155
	v_add_f32_e32 v2, v139, v2
	v_fmac_f32_e32 v154, 0xbf7ba420, v75
	v_mul_u32_u24_e32 v24, 0x88, v44
	v_add_f32_e32 v105, v112, v113
	v_sub_f32_e32 v106, v186, v111
	v_add_f32_e32 v192, v195, v196
	v_add_f32_e32 v52, v209, v52
	v_fma_f32 v203, 0x3ee437d1, v77, -v157
	v_add_f32_e32 v17, v26, v25
	v_fma_f32 v23, 0xbe8c1d8e, v78, -v153
	v_add_f32_e32 v22, v146, v22
	v_fmac_f32_e32 v136, 0xbe8c1d8e, v77
	v_add_f32_e32 v18, v18, v3
	v_fma_f32 v25, 0x3ee437d1, v78, -v162
	v_add_f32_e32 v26, v154, v2
	v_fmac_f32_e32 v157, 0x3ee437d1, v77
	v_add3_u32 v24, 0, v24, v58
	v_add_f32_e32 v100, v118, v121
	v_add_f32_e32 v99, v106, v105
	;; [unrolled: 1-line block ×9, first 2 shown]
	ds_write2_b64 v24, v[12:13], v[16:17] offset1:1
	ds_write2_b64 v24, v[20:21], v[99:100] offset0:2 offset1:3
	ds_write2_b64 v24, v[160:161], v[54:55] offset0:4 offset1:5
	;; [unrolled: 1-line block ×7, first 2 shown]
	ds_write_b64 v24, v[0:1] offset:128
.LBB0_21:
	s_or_b32 exec_lo, exec_lo, s1
	s_waitcnt lgkmcnt(0)
	s_barrier
	buffer_gl0_inv
	ds_read2_b64 v[12:15], v45 offset0:102 offset1:221
	ds_read2_b64 v[16:19], v60 offset0:67 offset1:186
	;; [unrolled: 1-line block ×5, first 2 shown]
	ds_read_b64 v[32:33], v57
	ds_read_b64 v[34:35], v45 offset:9656
	v_cmp_gt_u32_e64 s0, 17, v44
	s_and_saveexec_b32 s1, s0
	s_cbranch_execz .LBB0_23
; %bb.22:
	v_add_nc_u32_e32 v0, 0x600, v45
	v_add_nc_u32_e32 v1, 0x1400, v45
	;; [unrolled: 1-line block ×3, first 2 shown]
	ds_read2_b64 v[8:11], v0 offset0:12 offset1:233
	ds_read2_b64 v[4:7], v1 offset0:6 offset1:227
	ds_read2_b64 v[0:3], v2 offset1:221
.LBB0_23:
	s_or_b32 exec_lo, exec_lo, s1
	v_and_b32_e32 v36, 0xff, v44
	v_add_nc_u16 v42, v44, 0x66
	v_mul_lo_u16 v36, 0xf1, v36
	v_and_b32_e32 v39, 0xff, v42
	v_lshrrev_b16 v37, 12, v36
	v_mov_b32_e32 v36, 5
	v_mul_lo_u16 v38, v37, 17
	v_and_b32_e32 v68, 0xffff, v37
	v_mov_b32_e32 v37, 3
	v_sub_nc_u16 v65, v44, v38
	v_mul_lo_u16 v38, 0xf1, v39
	v_mad_u32_u24 v68, 0x330, v68, 0
	v_mul_u32_u24_sdwa v39, v65, v36 dst_sel:DWORD dst_unused:UNUSED_PAD src0_sel:BYTE_0 src1_sel:DWORD
	v_lshrrev_b16 v66, 12, v38
	v_lshlrev_b32_sdwa v65, v37, v65 dst_sel:DWORD dst_unused:UNUSED_PAD src0_sel:DWORD src1_sel:BYTE_0
	v_lshlrev_b32_e32 v43, 3, v39
	v_mul_lo_u16 v52, v66, 17
	v_and_b32_e32 v66, 0xffff, v66
	v_add3_u32 v65, v68, v65, v58
	s_clause 0x1
	global_load_dwordx4 v[38:41], v43, s[8:9]
	global_load_dwordx4 v[48:51], v43, s[8:9] offset:16
	v_sub_nc_u16 v67, v42, v52
	global_load_dwordx2 v[42:43], v43, s[8:9] offset:32
	v_mad_u32_u24 v66, 0x330, v66, 0
	v_mul_u32_u24_sdwa v52, v67, v36 dst_sel:DWORD dst_unused:UNUSED_PAD src0_sel:BYTE_0 src1_sel:DWORD
	v_lshlrev_b32_sdwa v67, v37, v67 dst_sel:DWORD dst_unused:UNUSED_PAD src0_sel:DWORD src1_sel:BYTE_0
	v_lshlrev_b32_e32 v63, 3, v52
	v_add3_u32 v66, v66, v67, v58
	s_clause 0x2
	global_load_dwordx4 v[52:55], v63, s[8:9]
	global_load_dwordx4 v[59:62], v63, s[8:9] offset:16
	global_load_dwordx2 v[63:64], v63, s[8:9] offset:32
	s_waitcnt vmcnt(0) lgkmcnt(0)
	s_barrier
	buffer_gl0_inv
	v_mul_f32_e32 v67, v39, v15
	v_mul_f32_e32 v39, v39, v14
	;; [unrolled: 1-line block ×10, first 2 shown]
	v_fma_f32 v67, v38, v14, -v67
	v_fmac_f32_e32 v39, v38, v15
	v_fma_f32 v14, v40, v18, -v68
	v_fmac_f32_e32 v41, v40, v19
	;; [unrolled: 2-line block ×5, first 2 shown]
	v_mul_f32_e32 v22, v53, v17
	v_mul_f32_e32 v30, v53, v16
	;; [unrolled: 1-line block ×10, first 2 shown]
	v_fma_f32 v50, v52, v16, -v22
	v_fmac_f32_e32 v30, v52, v17
	v_fma_f32 v16, v54, v20, -v23
	v_fmac_f32_e32 v26, v54, v21
	;; [unrolled: 2-line block ×5, first 2 shown]
	v_add_f32_e32 v23, v14, v18
	v_add_f32_e32 v28, v67, v15
	;; [unrolled: 1-line block ×6, first 2 shown]
	v_sub_f32_e32 v24, v41, v51
	v_add_f32_e32 v25, v33, v41
	v_add_f32_e32 v27, v41, v51
	v_sub_f32_e32 v34, v49, v43
	v_sub_f32_e32 v15, v15, v19
	v_fma_f32 v32, -0.5, v23, v32
	v_add_f32_e32 v19, v28, v19
	v_fmac_f32_e32 v67, -0.5, v29
	v_add_f32_e32 v23, v35, v43
	v_sub_f32_e32 v28, v26, v40
	v_add_f32_e32 v29, v13, v26
	v_add_f32_e32 v26, v26, v40
	;; [unrolled: 1-line block ×3, first 2 shown]
	v_sub_f32_e32 v42, v31, v48
	v_add_f32_e32 v43, v30, v31
	v_add_f32_e32 v31, v31, v48
	v_fmac_f32_e32 v39, -0.5, v38
	v_sub_f32_e32 v14, v14, v18
	v_add_f32_e32 v18, v22, v18
	v_add_f32_e32 v22, v25, v51
	v_sub_f32_e32 v35, v16, v20
	v_add_f32_e32 v38, v50, v17
	v_sub_f32_e32 v49, v17, v21
	v_fmamk_f32 v51, v24, 0x3f5db3d7, v32
	v_fmac_f32_e32 v32, 0xbf5db3d7, v24
	v_fmamk_f32 v24, v34, 0x3f5db3d7, v67
	v_fmac_f32_e32 v13, -0.5, v26
	v_fmac_f32_e32 v50, -0.5, v41
	;; [unrolled: 1-line block ×4, first 2 shown]
	v_add_f32_e32 v27, v16, v20
	v_fmac_f32_e32 v67, 0xbf5db3d7, v34
	v_fmamk_f32 v34, v15, 0xbf5db3d7, v39
	v_fmac_f32_e32 v39, 0x3f5db3d7, v15
	v_add_f32_e32 v15, v22, v23
	v_sub_f32_e32 v17, v22, v23
	v_add_f32_e32 v22, v29, v40
	v_mul_f32_e32 v29, 0xbf5db3d7, v24
	v_fmamk_f32 v40, v35, 0xbf5db3d7, v13
	v_fmac_f32_e32 v13, 0x3f5db3d7, v35
	v_fmamk_f32 v35, v42, 0x3f5db3d7, v50
	v_fmamk_f32 v41, v49, 0xbf5db3d7, v30
	v_add_f32_e32 v25, v12, v16
	v_fma_f32 v12, -0.5, v27, v12
	v_mul_f32_e32 v27, -0.5, v67
	v_fmac_f32_e32 v50, 0xbf5db3d7, v42
	v_fmac_f32_e32 v30, 0x3f5db3d7, v49
	v_mul_f32_e32 v26, 0x3f5db3d7, v34
	v_mul_f32_e32 v31, -0.5, v39
	v_fmac_f32_e32 v29, 0.5, v34
	v_mul_f32_e32 v34, 0x3f5db3d7, v41
	v_mul_f32_e32 v42, 0xbf5db3d7, v35
	v_add_f32_e32 v23, v43, v48
	v_fmac_f32_e32 v27, 0x3f5db3d7, v39
	v_mul_f32_e32 v39, -0.5, v50
	v_mul_f32_e32 v43, -0.5, v30
	v_fmamk_f32 v52, v14, 0xbf5db3d7, v33
	v_add_f32_e32 v20, v25, v20
	v_add_f32_e32 v21, v38, v21
	v_fmac_f32_e32 v26, 0.5, v24
	v_fmac_f32_e32 v33, 0x3f5db3d7, v14
	v_fmac_f32_e32 v31, 0xbf5db3d7, v67
	v_fmamk_f32 v38, v28, 0x3f5db3d7, v12
	v_fmac_f32_e32 v34, 0.5, v35
	v_fmac_f32_e32 v42, 0.5, v41
	v_fmac_f32_e32 v12, 0xbf5db3d7, v28
	v_fmac_f32_e32 v39, 0x3f5db3d7, v30
	;; [unrolled: 1-line block ×3, first 2 shown]
	v_add_f32_e32 v14, v18, v19
	v_sub_f32_e32 v16, v18, v19
	v_add_f32_e32 v18, v20, v21
	v_add_f32_e32 v19, v22, v23
	v_sub_f32_e32 v20, v20, v21
	v_sub_f32_e32 v21, v22, v23
	v_add_f32_e32 v22, v51, v26
	v_add_f32_e32 v23, v52, v29
	v_add_f32_e32 v24, v32, v27
	v_add_f32_e32 v25, v33, v31
	v_sub_f32_e32 v26, v51, v26
	v_sub_f32_e32 v28, v32, v27
	;; [unrolled: 1-line block ×4, first 2 shown]
	v_add_f32_e32 v30, v38, v34
	v_add_f32_e32 v31, v40, v42
	;; [unrolled: 1-line block ×4, first 2 shown]
	v_sub_f32_e32 v34, v38, v34
	v_sub_f32_e32 v12, v12, v39
	;; [unrolled: 1-line block ×4, first 2 shown]
	ds_write2_b64 v65, v[14:15], v[22:23] offset1:17
	ds_write2_b64 v65, v[24:25], v[16:17] offset0:34 offset1:51
	ds_write2_b64 v65, v[26:27], v[28:29] offset0:68 offset1:85
	ds_write2_b64 v66, v[18:19], v[30:31] offset1:17
	ds_write2_b64 v66, v[32:33], v[20:21] offset0:34 offset1:51
	ds_write2_b64 v66, v[34:35], v[12:13] offset0:68 offset1:85
	s_and_saveexec_b32 s1, s0
	s_cbranch_execz .LBB0_25
; %bb.24:
	v_add_nc_u32_e32 v12, 0xcc, v44
	v_mov_b32_e32 v13, 0xf0f1
	v_mul_u32_u24_sdwa v13, v12, v13 dst_sel:DWORD dst_unused:UNUSED_PAD src0_sel:WORD_0 src1_sel:DWORD
	v_lshrrev_b32_e32 v13, 20, v13
	v_mul_lo_u16 v13, v13, 17
	v_sub_nc_u16 v22, v12, v13
	v_mul_u32_u24_sdwa v12, v22, v36 dst_sel:DWORD dst_unused:UNUSED_PAD src0_sel:WORD_0 src1_sel:DWORD
	v_lshlrev_b32_sdwa v22, v37, v22 dst_sel:DWORD dst_unused:UNUSED_PAD src0_sel:DWORD src1_sel:WORD_0
	v_lshlrev_b32_e32 v20, 3, v12
	v_add3_u32 v22, 0, v22, v58
	s_clause 0x2
	global_load_dwordx4 v[12:15], v20, s[8:9]
	global_load_dwordx4 v[16:19], v20, s[8:9] offset:16
	global_load_dwordx2 v[20:21], v20, s[8:9] offset:32
	v_add_nc_u32_e32 v23, 0x2000, v22
	v_add_nc_u32_e32 v22, 0x2800, v22
	s_waitcnt vmcnt(2)
	v_mul_f32_e32 v24, v5, v15
	s_waitcnt vmcnt(1)
	v_mul_f32_e32 v25, v1, v19
	v_mul_f32_e32 v15, v4, v15
	v_mul_f32_e32 v19, v0, v19
	v_mul_f32_e32 v27, v7, v17
	s_waitcnt vmcnt(0)
	v_mul_f32_e32 v28, v3, v21
	v_mul_f32_e32 v17, v6, v17
	;; [unrolled: 1-line block ×5, first 2 shown]
	v_fmac_f32_e32 v15, v5, v14
	v_fmac_f32_e32 v19, v1, v18
	v_fma_f32 v5, v6, v16, -v27
	v_fma_f32 v2, v2, v20, -v28
	v_fmac_f32_e32 v17, v7, v16
	v_fmac_f32_e32 v21, v3, v20
	v_fma_f32 v1, v10, v12, -v26
	v_fmac_f32_e32 v13, v11, v12
	v_add_f32_e32 v6, v15, v19
	v_add_f32_e32 v7, v5, v2
	;; [unrolled: 1-line block ×3, first 2 shown]
	v_fma_f32 v4, v4, v14, -v24
	v_fma_f32 v0, v0, v18, -v25
	v_sub_f32_e32 v10, v17, v21
	v_sub_f32_e32 v11, v5, v2
	v_add_f32_e32 v14, v9, v15
	v_add_f32_e32 v16, v13, v17
	;; [unrolled: 1-line block ×3, first 2 shown]
	v_fma_f32 v6, -0.5, v6, v9
	v_fma_f32 v7, -0.5, v7, v1
	;; [unrolled: 1-line block ×3, first 2 shown]
	v_add_f32_e32 v17, v4, v0
	v_sub_f32_e32 v3, v4, v0
	v_add_f32_e32 v12, v14, v19
	v_add_f32_e32 v13, v16, v21
	;; [unrolled: 1-line block ×3, first 2 shown]
	v_fmamk_f32 v5, v10, 0xbf5db3d7, v7
	v_fmamk_f32 v16, v11, 0x3f5db3d7, v9
	v_fmac_f32_e32 v9, 0xbf5db3d7, v11
	v_fmac_f32_e32 v7, 0x3f5db3d7, v10
	v_sub_f32_e32 v15, v15, v19
	v_fma_f32 v14, -0.5, v17, v8
	v_add_f32_e32 v4, v8, v4
	v_fmamk_f32 v8, v3, 0x3f5db3d7, v6
	v_fmac_f32_e32 v6, 0xbf5db3d7, v3
	v_sub_f32_e32 v1, v12, v13
	v_mul_f32_e32 v10, -0.5, v16
	v_mul_f32_e32 v11, 0xbf5db3d7, v7
	v_add_f32_e32 v3, v12, v13
	v_mul_f32_e32 v12, 0x3f5db3d7, v9
	v_fmamk_f32 v17, v15, 0xbf5db3d7, v14
	v_fmac_f32_e32 v14, 0x3f5db3d7, v15
	v_mul_f32_e32 v15, -0.5, v5
	v_add_f32_e32 v4, v4, v0
	v_fmac_f32_e32 v10, 0xbf5db3d7, v5
	v_fmac_f32_e32 v11, 0.5, v9
	v_fmac_f32_e32 v12, 0.5, v7
	v_fmac_f32_e32 v15, 0x3f5db3d7, v16
	v_sub_f32_e32 v0, v4, v2
	v_add_f32_e32 v2, v4, v2
	v_sub_f32_e32 v5, v8, v10
	v_sub_f32_e32 v7, v6, v11
	v_add_f32_e32 v9, v8, v10
	v_add_f32_e32 v11, v6, v11
	;; [unrolled: 1-line block ×4, first 2 shown]
	v_sub_f32_e32 v4, v17, v15
	v_sub_f32_e32 v6, v14, v12
	ds_write2_b64 v23, v[2:3], v[10:11] offset0:200 offset1:217
	ds_write2_b64 v23, v[8:9], v[0:1] offset0:234 offset1:251
	;; [unrolled: 1-line block ×3, first 2 shown]
.LBB0_25:
	s_or_b32 exec_lo, exec_lo, s1
	v_mul_u32_u24_e32 v0, 12, v44
	s_waitcnt lgkmcnt(0)
	s_barrier
	buffer_gl0_inv
	v_add_nc_u32_e32 v2, 0x800, v45
	v_lshlrev_b32_e32 v0, 3, v0
	v_add_nc_u32_e32 v1, 0x1400, v45
	v_add_nc_u32_e32 v3, 0x1800, v45
	;; [unrolled: 1-line block ×3, first 2 shown]
	s_clause 0x5
	global_load_dwordx4 v[13:16], v0, s[8:9] offset:680
	global_load_dwordx4 v[20:23], v0, s[8:9] offset:696
	;; [unrolled: 1-line block ×6, first 2 shown]
	ds_read2_b64 v[40:43], v45 offset0:102 offset1:204
	v_add_nc_u32_e32 v0, 0xc00, v45
	ds_read2_b64 v[48:51], v2 offset0:50 offset1:152
	ds_read2_b64 v[58:61], v1 offset0:74 offset1:176
	;; [unrolled: 1-line block ×4, first 2 shown]
	ds_read_b64 v[0:1], v57
	ds_read2_b64 v[66:69], v4 offset0:98 offset1:200
	s_waitcnt vmcnt(0) lgkmcnt(0)
	s_barrier
	buffer_gl0_inv
	v_mul_f32_e32 v57, v14, v40
	v_mul_f32_e32 v6, v14, v41
	;; [unrolled: 1-line block ×14, first 2 shown]
	v_fmac_f32_e32 v57, v13, v41
	v_mul_f32_e32 v14, v21, v49
	v_mul_f32_e32 v71, v21, v48
	;; [unrolled: 1-line block ×10, first 2 shown]
	v_fma_f32 v37, v13, v40, -v6
	v_fmac_f32_e32 v70, v15, v43
	v_fma_f32 v6, v54, v26, -v23
	v_fma_f32 v13, v68, v38, -v35
	v_fmac_f32_e32 v11, v69, v38
	v_add_f32_e32 v23, v57, v1
	v_fma_f32 v39, v15, v42, -v7
	v_fma_f32 v40, v20, v48, -v14
	v_fmac_f32_e32 v71, v20, v49
	v_fma_f32 v21, v22, v50, -v16
	v_fmac_f32_e32 v19, v22, v51
	;; [unrolled: 2-line block ×3, first 2 shown]
	v_fma_f32 v17, v60, v30, -v27
	v_fma_f32 v14, v66, v36, -v33
	v_fmac_f32_e32 v10, v67, v36
	v_add_f32_e32 v22, v37, v0
	v_sub_f32_e32 v26, v37, v13
	v_sub_f32_e32 v27, v57, v11
	v_add_f32_e32 v23, v23, v70
	v_fmac_f32_e32 v18, v53, v24
	v_fma_f32 v7, v58, v28, -v25
	v_fmac_f32_e32 v5, v59, v28
	v_fmac_f32_e32 v12, v61, v30
	;; [unrolled: 1-line block ×3, first 2 shown]
	v_fma_f32 v15, v64, v34, -v31
	v_fmac_f32_e32 v9, v65, v34
	v_add_f32_e32 v24, v37, v13
	v_add_f32_e32 v25, v57, v11
	;; [unrolled: 1-line block ×3, first 2 shown]
	v_sub_f32_e32 v30, v39, v14
	v_sub_f32_e32 v31, v70, v10
	v_add_f32_e32 v22, v22, v39
	v_mul_f32_e32 v39, 0xbeedf032, v27
	v_mul_f32_e32 v50, 0xbeedf032, v26
	;; [unrolled: 1-line block ×12, first 2 shown]
	v_add_f32_e32 v23, v23, v71
	v_fma_f32 v16, v62, v32, -v29
	v_add_f32_e32 v29, v70, v10
	v_add_f32_e32 v32, v40, v15
	;; [unrolled: 1-line block ×3, first 2 shown]
	v_sub_f32_e32 v34, v40, v15
	v_sub_f32_e32 v35, v71, v9
	v_add_f32_e32 v37, v19, v8
	v_sub_f32_e32 v41, v19, v8
	v_mul_f32_e32 v60, 0xbf52af12, v31
	v_mul_f32_e32 v61, 0xbf52af12, v30
	;; [unrolled: 1-line block ×12, first 2 shown]
	v_add_f32_e32 v22, v22, v40
	v_fma_f32 v40, 0x3f62ad3f, v24, -v39
	v_fmamk_f32 v71, v25, 0x3f62ad3f, v50
	v_fmac_f32_e32 v39, 0x3f62ad3f, v24
	v_fma_f32 v50, 0x3f62ad3f, v25, -v50
	v_fma_f32 v101, 0x3f116cb1, v24, -v51
	v_fmamk_f32 v102, v25, 0x3f116cb1, v52
	v_fmac_f32_e32 v51, 0x3f116cb1, v24
	v_fma_f32 v52, 0x3f116cb1, v25, -v52
	;; [unrolled: 4-line block ×6, first 2 shown]
	v_add_f32_e32 v19, v23, v19
	v_add_f32_e32 v36, v21, v16
	v_sub_f32_e32 v38, v21, v16
	v_add_f32_e32 v43, v18, v12
	v_sub_f32_e32 v49, v18, v12
	v_mul_f32_e32 v70, 0xbf7e222b, v35
	v_mul_f32_e32 v72, 0xbf7e222b, v34
	;; [unrolled: 1-line block ×12, first 2 shown]
	v_fma_f32 v25, 0x3f116cb1, v28, -v60
	v_fmac_f32_e32 v60, 0x3f116cb1, v28
	v_fma_f32 v111, 0xbeb58ec6, v28, -v62
	v_fmac_f32_e32 v62, 0xbeb58ec6, v28
	;; [unrolled: 2-line block ×6, first 2 shown]
	v_fma_f32 v28, 0x3f62ad3f, v29, -v30
	v_add_f32_e32 v21, v22, v21
	v_add_f32_e32 v22, v40, v0
	;; [unrolled: 1-line block ×15, first 2 shown]
	v_mul_f32_e32 v81, 0xbf6f5d39, v41
	v_mul_f32_e32 v82, 0xbf6f5d39, v38
	v_mul_f32_e32 v83, 0x3f29c268, v41
	v_mul_f32_e32 v84, 0x3f29c268, v38
	v_mul_f32_e32 v85, 0x3eedf032, v41
	v_mul_f32_e32 v86, 0x3eedf032, v38
	v_mul_f32_e32 v87, 0xbf7e222b, v41
	v_mul_f32_e32 v88, 0xbf7e222b, v38
	v_mul_f32_e32 v89, 0x3e750f2a, v41
	v_mul_f32_e32 v90, 0x3e750f2a, v38
	v_mul_f32_e32 v41, 0x3f52af12, v41
	v_mul_f32_e32 v38, 0x3f52af12, v38
	v_fmamk_f32 v26, v29, 0x3f116cb1, v61
	v_fma_f32 v61, 0x3f116cb1, v29, -v61
	v_fmamk_f32 v112, v29, 0xbeb58ec6, v63
	v_fma_f32 v63, 0xbeb58ec6, v29, -v63
	;; [unrolled: 2-line block ×6, first 2 shown]
	v_fmac_f32_e32 v70, 0x3df6dbef, v32
	v_fma_f32 v121, 0xbf788fa5, v32, -v73
	v_fmac_f32_e32 v73, 0xbf788fa5, v32
	v_fma_f32 v123, 0xbeb58ec6, v32, -v75
	;; [unrolled: 2-line block ×6, first 2 shown]
	v_add_f32_e32 v1, v28, v1
	v_add_f32_e32 v18, v18, v4
	v_fmamk_f32 v30, v33, 0x3df6dbef, v72
	v_fma_f32 v72, 0x3df6dbef, v33, -v72
	v_fmamk_f32 v122, v33, 0xbf788fa5, v74
	v_fma_f32 v74, 0xbf788fa5, v33, -v74
	;; [unrolled: 2-line block ×6, first 2 shown]
	v_fmac_f32_e32 v81, 0xbeb58ec6, v36
	v_fma_f32 v131, 0xbf3f9e67, v36, -v83
	v_fmac_f32_e32 v83, 0xbf3f9e67, v36
	v_fma_f32 v133, 0x3f62ad3f, v36, -v85
	v_fmac_f32_e32 v85, 0x3f62ad3f, v36
	v_fma_f32 v135, 0x3df6dbef, v36, -v87
	v_fmac_f32_e32 v87, 0x3df6dbef, v36
	v_fma_f32 v137, 0xbf788fa5, v36, -v89
	v_fmac_f32_e32 v89, 0xbf788fa5, v36
	v_fma_f32 v139, 0x3f116cb1, v36, -v41
	v_fmac_f32_e32 v41, 0x3f116cb1, v36
	v_fma_f32 v36, 0x3f116cb1, v37, -v38
	v_add_f32_e32 v1, v32, v1
	v_add_f32_e32 v18, v18, v5
	v_add_f32_e32 v39, v39, v0
	v_add_f32_e32 v50, v101, v0
	v_add_f32_e32 v53, v53, v0
	v_add_f32_e32 v36, v36, v1
	v_add_f32_e32 v1, v18, v12
	v_add_f32_e32 v42, v20, v17
	v_sub_f32_e32 v48, v20, v17
	v_add_f32_e32 v51, v51, v0
	v_add_f32_e32 v101, v103, v0
	;; [unrolled: 1-line block ×19, first 2 shown]
	v_mul_f32_e32 v91, 0xbf29c268, v49
	v_mul_f32_e32 v92, 0xbf29c268, v48
	;; [unrolled: 1-line block ×4, first 2 shown]
	v_fmamk_f32 v34, v37, 0xbeb58ec6, v82
	v_fmamk_f32 v132, v37, 0xbf3f9e67, v84
	v_fma_f32 v84, 0xbf3f9e67, v37, -v84
	v_fmamk_f32 v136, v37, 0x3df6dbef, v88
	v_add_f32_e32 v26, v62, v51
	v_add_f32_e32 v39, v113, v101
	;; [unrolled: 1-line block ×17, first 2 shown]
	v_mul_f32_e32 v93, 0x3f7e222b, v49
	v_mul_f32_e32 v95, 0xbf52af12, v49
	;; [unrolled: 1-line block ×4, first 2 shown]
	v_fma_f32 v82, 0xbeb58ec6, v37, -v82
	v_fmamk_f32 v134, v37, 0x3f62ad3f, v86
	v_fma_f32 v86, 0x3f62ad3f, v37, -v86
	v_fma_f32 v88, 0x3df6dbef, v37, -v88
	v_fmamk_f32 v138, v37, 0xbf788fa5, v90
	v_fma_f32 v90, 0xbf788fa5, v37, -v90
	v_fmamk_f32 v140, v37, 0x3f116cb1, v38
	;; [unrolled: 2-line block ×3, first 2 shown]
	v_fmac_f32_e32 v91, 0xbf3f9e67, v42
	v_fmamk_f32 v142, v43, 0x3df6dbef, v94
	v_fma_f32 v94, 0x3df6dbef, v43, -v94
	v_fmamk_f32 v146, v43, 0xbf788fa5, v98
	v_add_f32_e32 v25, v112, v71
	v_add_f32_e32 v60, v118, v106
	v_add_f32_e32 v23, v72, v23
	v_add_f32_e32 v24, v121, v24
	v_add_f32_e32 v28, v123, v39
	v_add_f32_e32 v30, v75, v50
	v_add_f32_e32 v31, v76, v51
	v_add_f32_e32 v39, v125, v52
	v_add_f32_e32 v51, v78, v55
	v_add_f32_e32 v52, v127, v57
	v_add_f32_e32 v57, v129, v61
	v_add_f32_e32 v0, v35, v0
	v_add_f32_e32 v20, v20, v7
	v_add_f32_e32 v19, v33, v19
	v_add_f32_e32 v21, v34, v21
	v_add_f32_e32 v22, v81, v22
	v_add_f32_e32 v27, v84, v27
	v_add_f32_e32 v33, v136, v40
	v_add_f32_e32 v1, v1, v10
	v_mul_f32_e32 v9, 0xbf6f5d39, v49
	v_mul_f32_e32 v100, 0x3eedf032, v48
	v_fma_f32 v92, 0xbf3f9e67, v43, -v92
	v_fma_f32 v141, 0x3df6dbef, v42, -v93
	;; [unrolled: 1-line block ×3, first 2 shown]
	v_fmamk_f32 v144, v43, 0x3f116cb1, v96
	v_fmac_f32_e32 v95, 0x3f116cb1, v42
	v_fma_f32 v98, 0xbf788fa5, v43, -v98
	v_fma_f32 v147, 0x3f62ad3f, v42, -v99
	v_add_f32_e32 v59, v69, v59
	v_add_f32_e32 v25, v122, v25
	;; [unrolled: 1-line block ×18, first 2 shown]
	v_fma_f32 v10, 0xbeb58ec6, v42, -v9
	v_mul_f32_e32 v11, 0xbf6f5d39, v48
	v_sub_f32_e32 v33, v4, v5
	v_sub_f32_e32 v38, v6, v7
	v_mul_f32_e32 v97, 0x3e750f2a, v49
	v_fma_f32 v96, 0x3f116cb1, v43, -v96
	v_add_f32_e32 v58, v68, v58
	v_add_f32_e32 v62, v120, v108
	;; [unrolled: 1-line block ×13, first 2 shown]
	v_fmamk_f32 v8, v43, 0x3f62ad3f, v100
	v_add_f32_e32 v29, v98, v35
	v_add_f32_e32 v30, v147, v39
	;; [unrolled: 1-line block ×4, first 2 shown]
	v_mul_f32_e32 v10, 0xbe750f2a, v33
	v_fmac_f32_e32 v9, 0xbeb58ec6, v42
	v_fma_f32 v6, 0xbeb58ec6, v43, -v11
	v_add_f32_e32 v39, v4, v5
	v_mul_f32_e32 v5, 0xbe750f2a, v38
	v_fma_f32 v145, 0xbf788fa5, v42, -v97
	v_fmac_f32_e32 v97, 0xbf788fa5, v42
	v_add_f32_e32 v26, v73, v26
	v_add_f32_e32 v54, v79, v58
	;; [unrolled: 1-line block ×10, first 2 shown]
	v_fma_f32 v8, 0x3f62ad3f, v43, -v100
	v_fma_f32 v4, 0xbf788fa5, v37, -v10
	v_add_f32_e32 v41, v9, v41
	v_add_f32_e32 v36, v6, v36
	v_fmamk_f32 v6, v39, 0xbf788fa5, v5
	v_fmac_f32_e32 v10, 0xbf788fa5, v37
	v_mul_f32_e32 v9, 0x3eedf032, v38
	v_fmac_f32_e32 v93, 0x3df6dbef, v42
	v_add_f32_e32 v26, v83, v26
	v_add_f32_e32 v53, v140, v58
	;; [unrolled: 1-line block ×6, first 2 shown]
	v_fmamk_f32 v8, v43, 0xbeb58ec6, v11
	v_mul_f32_e32 v11, 0x3eedf032, v33
	v_fma_f32 v7, 0xbf788fa5, v39, -v5
	v_add_f32_e32 v5, v6, v17
	v_add_f32_e32 v6, v10, v18
	v_fmamk_f32 v10, v39, 0x3f62ad3f, v9
	v_mul_f32_e32 v14, 0xbf29c268, v33
	v_add_f32_e32 v21, v93, v26
	v_add_f32_e32 v0, v0, v13
	;; [unrolled: 1-line block ×4, first 2 shown]
	v_fma_f32 v8, 0x3f62ad3f, v37, -v11
	v_fmac_f32_e32 v11, 0x3f62ad3f, v37
	v_fma_f32 v12, 0x3f62ad3f, v39, -v9
	v_add_f32_e32 v9, v10, v16
	v_fma_f32 v13, 0xbf3f9e67, v37, -v14
	v_mul_f32_e32 v16, 0xbf29c268, v38
	v_add_f32_e32 v10, v11, v21
	v_add_f32_e32 v11, v12, v22
	v_mul_f32_e32 v18, 0x3f52af12, v33
	v_add_f32_e32 v12, v13, v15
	v_fmamk_f32 v13, v39, 0xbf3f9e67, v16
	v_fma_f32 v15, 0xbf3f9e67, v39, -v16
	v_mul_f32_e32 v17, 0x3f52af12, v38
	v_add_f32_e32 v26, v145, v32
	v_fmac_f32_e32 v14, 0xbf3f9e67, v37
	v_fma_f32 v16, 0x3f116cb1, v37, -v18
	v_add_f32_e32 v13, v13, v23
	v_mul_f32_e32 v22, 0xbf6f5d39, v33
	v_mul_f32_e32 v23, 0xbf6f5d39, v38
	v_add_f32_e32 v7, v7, v19
	v_add_f32_e32 v15, v15, v25
	v_fmamk_f32 v19, v39, 0x3f116cb1, v17
	v_fmac_f32_e32 v18, 0x3f116cb1, v37
	v_mul_f32_e32 v25, 0x3f7e222b, v38
	v_add_f32_e32 v8, v8, v20
	v_add_f32_e32 v14, v14, v24
	;; [unrolled: 1-line block ×3, first 2 shown]
	v_fma_f32 v20, 0x3f116cb1, v39, -v17
	v_fma_f32 v21, 0xbeb58ec6, v37, -v22
	v_fmamk_f32 v24, v39, 0xbeb58ec6, v23
	v_mul_f32_e32 v26, 0x3f7e222b, v33
	v_add_f32_e32 v50, v89, v54
	v_fmac_f32_e32 v99, 0x3f62ad3f, v42
	v_add_f32_e32 v17, v19, v27
	v_add_f32_e32 v18, v18, v28
	v_fmamk_f32 v27, v39, 0x3df6dbef, v25
	v_fma_f32 v28, 0x3df6dbef, v39, -v25
	v_add_f32_e32 v19, v20, v29
	v_add_f32_e32 v20, v21, v30
	;; [unrolled: 1-line block ×3, first 2 shown]
	v_fma_f32 v24, 0x3df6dbef, v37, -v26
	v_fmac_f32_e32 v26, 0x3df6dbef, v37
	v_add_f32_e32 v32, v99, v50
	v_fmac_f32_e32 v22, 0xbeb58ec6, v37
	v_fma_f32 v23, 0xbeb58ec6, v39, -v23
	v_add_f32_e32 v25, v27, v40
	v_add_f32_e32 v27, v28, v36
	v_add_nc_u32_e32 v28, 0x400, v45
	v_add_f32_e32 v24, v24, v35
	v_add_f32_e32 v26, v26, v41
	v_add_nc_u32_e32 v29, 0x1000, v45
	v_add_f32_e32 v22, v22, v32
	v_add_f32_e32 v23, v23, v34
	ds_write2_b64 v45, v[0:1], v[4:5] offset1:102
	v_add_nc_u32_e32 v0, 0x1c00, v45
	ds_write2_b64 v28, v[8:9], v[12:13] offset0:76 offset1:178
	ds_write2_b64 v2, v[16:17], v[20:21] offset0:152 offset1:254
	;; [unrolled: 1-line block ×5, first 2 shown]
	ds_write_b64 v45, v[6:7] offset:9792
	s_waitcnt lgkmcnt(0)
	s_barrier
	buffer_gl0_inv
	s_and_saveexec_b32 s0, vcc_lo
	s_cbranch_execz .LBB0_27
; %bb.26:
	v_lshl_add_u32 v22, v44, 3, v56
	v_mov_b32_e32 v45, 0
	v_add_nc_u32_e32 v4, 0x66, v44
	v_add_co_u32 v23, vcc_lo, s2, v46
	v_add_nc_u32_e32 v6, 0x400, v22
	v_mov_b32_e32 v5, v45
	v_lshlrev_b64 v[8:9], 3, v[44:45]
	ds_read2_b64 v[0:3], v22 offset1:102
	v_add_co_ci_u32_e32 v24, vcc_lo, s3, v47, vcc_lo
	v_add_nc_u32_e32 v12, 0xcc, v44
	v_mov_b32_e32 v13, v45
	v_lshlrev_b64 v[10:11], 3, v[4:5]
	ds_read2_b64 v[4:7], v6 offset0:76 offset1:178
	v_add_co_u32 v14, vcc_lo, v23, v8
	v_add_co_ci_u32_e32 v15, vcc_lo, v24, v9, vcc_lo
	v_lshlrev_b64 v[8:9], 3, v[12:13]
	v_add_co_u32 v12, vcc_lo, v23, v10
	v_add_nc_u32_e32 v10, 0x800, v22
	v_add_co_ci_u32_e32 v13, vcc_lo, v24, v11, vcc_lo
	v_add_co_u32 v18, vcc_lo, v23, v8
	v_add_nc_u32_e32 v16, 0x132, v44
	v_mov_b32_e32 v17, v45
	v_add_co_ci_u32_e32 v19, vcc_lo, v24, v9, vcc_lo
	ds_read2_b64 v[8:11], v10 offset0:152 offset1:254
	v_add_nc_u32_e32 v20, 0x198, v44
	v_mov_b32_e32 v21, v45
	v_lshlrev_b64 v[16:17], 3, v[16:17]
	s_waitcnt lgkmcnt(2)
	global_store_dwordx2 v[14:15], v[0:1], off
	global_store_dwordx2 v[12:13], v[2:3], off
	s_waitcnt lgkmcnt(1)
	global_store_dwordx2 v[18:19], v[4:5], off
	v_add_nc_u32_e32 v14, 0x1000, v22
	v_add_nc_u32_e32 v4, 0x1fe, v44
	v_lshlrev_b64 v[0:1], 3, v[20:21]
	v_mov_b32_e32 v5, v45
	v_add_co_u32 v2, vcc_lo, v23, v16
	v_add_co_ci_u32_e32 v3, vcc_lo, v24, v17, vcc_lo
	v_add_co_u32 v0, vcc_lo, v23, v0
	v_add_co_ci_u32_e32 v1, vcc_lo, v24, v1, vcc_lo
	global_store_dwordx2 v[2:3], v[6:7], off
	s_waitcnt lgkmcnt(0)
	global_store_dwordx2 v[0:1], v[8:9], off
	v_add_nc_u32_e32 v12, 0x264, v44
	v_mov_b32_e32 v13, v45
	ds_read2_b64 v[0:3], v14 offset0:100 offset1:202
	v_lshlrev_b64 v[4:5], 3, v[4:5]
	v_add_nc_u32_e32 v8, 0x2ca, v44
	v_mov_b32_e32 v9, v45
	v_lshlrev_b64 v[6:7], 3, v[12:13]
	v_add_nc_u32_e32 v12, 0x330, v44
	v_add_nc_u32_e32 v14, 0x1800, v22
	v_add_co_u32 v4, vcc_lo, v23, v4
	v_lshlrev_b64 v[8:9], 3, v[8:9]
	v_add_co_ci_u32_e32 v5, vcc_lo, v24, v5, vcc_lo
	v_add_co_u32 v6, vcc_lo, v23, v6
	v_add_co_ci_u32_e32 v7, vcc_lo, v24, v7, vcc_lo
	v_add_co_u32 v8, vcc_lo, v23, v8
	v_add_co_ci_u32_e32 v9, vcc_lo, v24, v9, vcc_lo
	global_store_dwordx2 v[4:5], v[10:11], off
	s_waitcnt lgkmcnt(0)
	global_store_dwordx2 v[6:7], v[0:1], off
	global_store_dwordx2 v[8:9], v[2:3], off
	v_lshlrev_b64 v[4:5], 3, v[12:13]
	ds_read2_b64 v[0:3], v14 offset0:48 offset1:150
	v_add_nc_u32_e32 v6, 0x396, v44
	v_mov_b32_e32 v7, v45
	v_add_nc_u32_e32 v14, 0x1c00, v22
	v_add_nc_u32_e32 v8, 0x3fc, v44
	v_mov_b32_e32 v9, v45
	v_add_co_u32 v10, vcc_lo, v23, v4
	v_add_co_ci_u32_e32 v11, vcc_lo, v24, v5, vcc_lo
	v_lshlrev_b64 v[12:13], 3, v[6:7]
	ds_read2_b64 v[4:7], v14 offset0:124 offset1:226
	v_add_nc_u32_e32 v14, 0x462, v44
	v_mov_b32_e32 v15, v45
	ds_read_b64 v[16:17], v22 offset:9792
	v_lshlrev_b64 v[8:9], 3, v[8:9]
	v_add_nc_u32_e32 v44, 0x4c8, v44
	v_add_co_u32 v12, vcc_lo, v23, v12
	v_lshlrev_b64 v[14:15], 3, v[14:15]
	v_add_co_ci_u32_e32 v13, vcc_lo, v24, v13, vcc_lo
	v_add_co_u32 v8, vcc_lo, v23, v8
	v_lshlrev_b64 v[18:19], 3, v[44:45]
	v_add_co_ci_u32_e32 v9, vcc_lo, v24, v9, vcc_lo
	v_add_co_u32 v14, vcc_lo, v23, v14
	v_add_co_ci_u32_e32 v15, vcc_lo, v24, v15, vcc_lo
	v_add_co_u32 v18, vcc_lo, v23, v18
	v_add_co_ci_u32_e32 v19, vcc_lo, v24, v19, vcc_lo
	s_waitcnt lgkmcnt(2)
	global_store_dwordx2 v[10:11], v[0:1], off
	global_store_dwordx2 v[12:13], v[2:3], off
	s_waitcnt lgkmcnt(1)
	global_store_dwordx2 v[8:9], v[4:5], off
	global_store_dwordx2 v[14:15], v[6:7], off
	s_waitcnt lgkmcnt(0)
	global_store_dwordx2 v[18:19], v[16:17], off
.LBB0_27:
	s_endpgm
	.section	.rodata,"a",@progbits
	.p2align	6, 0x0
	.amdhsa_kernel fft_rtc_fwd_len1326_factors_17_6_13_wgs_204_tpt_102_halfLds_sp_ip_CI_unitstride_sbrr_C2R_dirReg
		.amdhsa_group_segment_fixed_size 0
		.amdhsa_private_segment_fixed_size 0
		.amdhsa_kernarg_size 88
		.amdhsa_user_sgpr_count 6
		.amdhsa_user_sgpr_private_segment_buffer 1
		.amdhsa_user_sgpr_dispatch_ptr 0
		.amdhsa_user_sgpr_queue_ptr 0
		.amdhsa_user_sgpr_kernarg_segment_ptr 1
		.amdhsa_user_sgpr_dispatch_id 0
		.amdhsa_user_sgpr_flat_scratch_init 0
		.amdhsa_user_sgpr_private_segment_size 0
		.amdhsa_wavefront_size32 1
		.amdhsa_uses_dynamic_stack 0
		.amdhsa_system_sgpr_private_segment_wavefront_offset 0
		.amdhsa_system_sgpr_workgroup_id_x 1
		.amdhsa_system_sgpr_workgroup_id_y 0
		.amdhsa_system_sgpr_workgroup_id_z 0
		.amdhsa_system_sgpr_workgroup_info 0
		.amdhsa_system_vgpr_workitem_id 0
		.amdhsa_next_free_vgpr 210
		.amdhsa_next_free_sgpr 21
		.amdhsa_reserve_vcc 1
		.amdhsa_reserve_flat_scratch 0
		.amdhsa_float_round_mode_32 0
		.amdhsa_float_round_mode_16_64 0
		.amdhsa_float_denorm_mode_32 3
		.amdhsa_float_denorm_mode_16_64 3
		.amdhsa_dx10_clamp 1
		.amdhsa_ieee_mode 1
		.amdhsa_fp16_overflow 0
		.amdhsa_workgroup_processor_mode 1
		.amdhsa_memory_ordered 1
		.amdhsa_forward_progress 0
		.amdhsa_shared_vgpr_count 0
		.amdhsa_exception_fp_ieee_invalid_op 0
		.amdhsa_exception_fp_denorm_src 0
		.amdhsa_exception_fp_ieee_div_zero 0
		.amdhsa_exception_fp_ieee_overflow 0
		.amdhsa_exception_fp_ieee_underflow 0
		.amdhsa_exception_fp_ieee_inexact 0
		.amdhsa_exception_int_div_zero 0
	.end_amdhsa_kernel
	.text
.Lfunc_end0:
	.size	fft_rtc_fwd_len1326_factors_17_6_13_wgs_204_tpt_102_halfLds_sp_ip_CI_unitstride_sbrr_C2R_dirReg, .Lfunc_end0-fft_rtc_fwd_len1326_factors_17_6_13_wgs_204_tpt_102_halfLds_sp_ip_CI_unitstride_sbrr_C2R_dirReg
                                        ; -- End function
	.section	.AMDGPU.csdata,"",@progbits
; Kernel info:
; codeLenInByte = 13648
; NumSgprs: 23
; NumVgprs: 210
; ScratchSize: 0
; MemoryBound: 0
; FloatMode: 240
; IeeeMode: 1
; LDSByteSize: 0 bytes/workgroup (compile time only)
; SGPRBlocks: 2
; VGPRBlocks: 26
; NumSGPRsForWavesPerEU: 23
; NumVGPRsForWavesPerEU: 210
; Occupancy: 4
; WaveLimiterHint : 1
; COMPUTE_PGM_RSRC2:SCRATCH_EN: 0
; COMPUTE_PGM_RSRC2:USER_SGPR: 6
; COMPUTE_PGM_RSRC2:TRAP_HANDLER: 0
; COMPUTE_PGM_RSRC2:TGID_X_EN: 1
; COMPUTE_PGM_RSRC2:TGID_Y_EN: 0
; COMPUTE_PGM_RSRC2:TGID_Z_EN: 0
; COMPUTE_PGM_RSRC2:TIDIG_COMP_CNT: 0
	.text
	.p2alignl 6, 3214868480
	.fill 48, 4, 3214868480
	.type	__hip_cuid_e10de2b9117987f1,@object ; @__hip_cuid_e10de2b9117987f1
	.section	.bss,"aw",@nobits
	.globl	__hip_cuid_e10de2b9117987f1
__hip_cuid_e10de2b9117987f1:
	.byte	0                               ; 0x0
	.size	__hip_cuid_e10de2b9117987f1, 1

	.ident	"AMD clang version 19.0.0git (https://github.com/RadeonOpenCompute/llvm-project roc-6.4.0 25133 c7fe45cf4b819c5991fe208aaa96edf142730f1d)"
	.section	".note.GNU-stack","",@progbits
	.addrsig
	.addrsig_sym __hip_cuid_e10de2b9117987f1
	.amdgpu_metadata
---
amdhsa.kernels:
  - .args:
      - .actual_access:  read_only
        .address_space:  global
        .offset:         0
        .size:           8
        .value_kind:     global_buffer
      - .offset:         8
        .size:           8
        .value_kind:     by_value
      - .actual_access:  read_only
        .address_space:  global
        .offset:         16
        .size:           8
        .value_kind:     global_buffer
      - .actual_access:  read_only
        .address_space:  global
        .offset:         24
        .size:           8
        .value_kind:     global_buffer
      - .offset:         32
        .size:           8
        .value_kind:     by_value
      - .actual_access:  read_only
        .address_space:  global
        .offset:         40
        .size:           8
        .value_kind:     global_buffer
      - .actual_access:  read_only
        .address_space:  global
        .offset:         48
        .size:           8
        .value_kind:     global_buffer
      - .offset:         56
        .size:           4
        .value_kind:     by_value
      - .actual_access:  read_only
        .address_space:  global
        .offset:         64
        .size:           8
        .value_kind:     global_buffer
      - .actual_access:  read_only
        .address_space:  global
        .offset:         72
        .size:           8
        .value_kind:     global_buffer
      - .address_space:  global
        .offset:         80
        .size:           8
        .value_kind:     global_buffer
    .group_segment_fixed_size: 0
    .kernarg_segment_align: 8
    .kernarg_segment_size: 88
    .language:       OpenCL C
    .language_version:
      - 2
      - 0
    .max_flat_workgroup_size: 204
    .name:           fft_rtc_fwd_len1326_factors_17_6_13_wgs_204_tpt_102_halfLds_sp_ip_CI_unitstride_sbrr_C2R_dirReg
    .private_segment_fixed_size: 0
    .sgpr_count:     23
    .sgpr_spill_count: 0
    .symbol:         fft_rtc_fwd_len1326_factors_17_6_13_wgs_204_tpt_102_halfLds_sp_ip_CI_unitstride_sbrr_C2R_dirReg.kd
    .uniform_work_group_size: 1
    .uses_dynamic_stack: false
    .vgpr_count:     210
    .vgpr_spill_count: 0
    .wavefront_size: 32
    .workgroup_processor_mode: 1
amdhsa.target:   amdgcn-amd-amdhsa--gfx1030
amdhsa.version:
  - 1
  - 2
...

	.end_amdgpu_metadata
